;; amdgpu-corpus repo=ROCm/rocFFT kind=compiled arch=gfx1030 opt=O3
	.text
	.amdgcn_target "amdgcn-amd-amdhsa--gfx1030"
	.amdhsa_code_object_version 6
	.protected	fft_rtc_fwd_len1078_factors_2_11_7_7_wgs_231_tpt_77_halfLds_sp_ip_CI_sbrr_dirReg ; -- Begin function fft_rtc_fwd_len1078_factors_2_11_7_7_wgs_231_tpt_77_halfLds_sp_ip_CI_sbrr_dirReg
	.globl	fft_rtc_fwd_len1078_factors_2_11_7_7_wgs_231_tpt_77_halfLds_sp_ip_CI_sbrr_dirReg
	.p2align	8
	.type	fft_rtc_fwd_len1078_factors_2_11_7_7_wgs_231_tpt_77_halfLds_sp_ip_CI_sbrr_dirReg,@function
fft_rtc_fwd_len1078_factors_2_11_7_7_wgs_231_tpt_77_halfLds_sp_ip_CI_sbrr_dirReg: ; @fft_rtc_fwd_len1078_factors_2_11_7_7_wgs_231_tpt_77_halfLds_sp_ip_CI_sbrr_dirReg
; %bb.0:
	s_clause 0x1
	s_load_dwordx2 s[14:15], s[4:5], 0x18
	s_load_dwordx4 s[8:11], s[4:5], 0x0
	v_mul_u32_u24_e32 v1, 0x354, v0
	v_mov_b32_e32 v5, 0
	v_mov_b32_e32 v3, 0
	v_mov_b32_e32 v4, 0
	s_load_dwordx2 s[12:13], s[4:5], 0x50
	s_waitcnt lgkmcnt(0)
	s_load_dwordx2 s[2:3], s[14:15], 0x0
	v_lshrrev_b32_e32 v1, 16, v1
	v_cmp_lt_u64_e64 s0, s[10:11], 2
	v_mad_u64_u32 v[1:2], null, s6, 3, v[1:2]
	v_mov_b32_e32 v2, v5
	s_and_b32 vcc_lo, exec_lo, s0
	v_mov_b32_e32 v10, v2
	v_mov_b32_e32 v9, v1
	s_cbranch_vccnz .LBB0_8
; %bb.1:
	s_load_dwordx2 s[0:1], s[4:5], 0x10
	v_mov_b32_e32 v3, 0
	v_mov_b32_e32 v8, v2
	s_add_u32 s6, s14, 8
	v_mov_b32_e32 v4, 0
	v_mov_b32_e32 v7, v1
	s_addc_u32 s7, s15, 0
	s_mov_b64 s[18:19], 1
	s_waitcnt lgkmcnt(0)
	s_add_u32 s16, s0, 8
	s_addc_u32 s17, s1, 0
.LBB0_2:                                ; =>This Inner Loop Header: Depth=1
	s_load_dwordx2 s[20:21], s[16:17], 0x0
                                        ; implicit-def: $vgpr9_vgpr10
	s_mov_b32 s0, exec_lo
	s_waitcnt lgkmcnt(0)
	v_or_b32_e32 v6, s21, v8
	v_cmpx_ne_u64_e32 0, v[5:6]
	s_xor_b32 s1, exec_lo, s0
	s_cbranch_execz .LBB0_4
; %bb.3:                                ;   in Loop: Header=BB0_2 Depth=1
	v_cvt_f32_u32_e32 v2, s20
	v_cvt_f32_u32_e32 v6, s21
	s_sub_u32 s0, 0, s20
	s_subb_u32 s22, 0, s21
	v_fmac_f32_e32 v2, 0x4f800000, v6
	v_rcp_f32_e32 v2, v2
	v_mul_f32_e32 v2, 0x5f7ffffc, v2
	v_mul_f32_e32 v6, 0x2f800000, v2
	v_trunc_f32_e32 v6, v6
	v_fmac_f32_e32 v2, 0xcf800000, v6
	v_cvt_u32_f32_e32 v6, v6
	v_cvt_u32_f32_e32 v2, v2
	v_mul_lo_u32 v9, s0, v6
	v_mul_hi_u32 v10, s0, v2
	v_mul_lo_u32 v11, s22, v2
	v_add_nc_u32_e32 v9, v10, v9
	v_mul_lo_u32 v10, s0, v2
	v_add_nc_u32_e32 v9, v9, v11
	v_mul_hi_u32 v11, v2, v10
	v_mul_lo_u32 v12, v2, v9
	v_mul_hi_u32 v13, v2, v9
	v_mul_hi_u32 v14, v6, v10
	v_mul_lo_u32 v10, v6, v10
	v_mul_hi_u32 v15, v6, v9
	v_mul_lo_u32 v9, v6, v9
	v_add_co_u32 v11, vcc_lo, v11, v12
	v_add_co_ci_u32_e32 v12, vcc_lo, 0, v13, vcc_lo
	v_add_co_u32 v10, vcc_lo, v11, v10
	v_add_co_ci_u32_e32 v10, vcc_lo, v12, v14, vcc_lo
	v_add_co_ci_u32_e32 v11, vcc_lo, 0, v15, vcc_lo
	v_add_co_u32 v9, vcc_lo, v10, v9
	v_add_co_ci_u32_e32 v10, vcc_lo, 0, v11, vcc_lo
	v_add_co_u32 v2, vcc_lo, v2, v9
	v_add_co_ci_u32_e32 v6, vcc_lo, v6, v10, vcc_lo
	v_mul_hi_u32 v9, s0, v2
	v_mul_lo_u32 v11, s22, v2
	v_mul_lo_u32 v10, s0, v6
	v_add_nc_u32_e32 v9, v9, v10
	v_mul_lo_u32 v10, s0, v2
	v_add_nc_u32_e32 v9, v9, v11
	v_mul_hi_u32 v11, v2, v10
	v_mul_lo_u32 v12, v2, v9
	v_mul_hi_u32 v13, v2, v9
	v_mul_hi_u32 v14, v6, v10
	v_mul_lo_u32 v10, v6, v10
	v_mul_hi_u32 v15, v6, v9
	v_mul_lo_u32 v9, v6, v9
	v_add_co_u32 v11, vcc_lo, v11, v12
	v_add_co_ci_u32_e32 v12, vcc_lo, 0, v13, vcc_lo
	v_add_co_u32 v10, vcc_lo, v11, v10
	v_add_co_ci_u32_e32 v10, vcc_lo, v12, v14, vcc_lo
	v_add_co_ci_u32_e32 v11, vcc_lo, 0, v15, vcc_lo
	v_add_co_u32 v9, vcc_lo, v10, v9
	v_add_co_ci_u32_e32 v10, vcc_lo, 0, v11, vcc_lo
	v_add_co_u32 v2, vcc_lo, v2, v9
	v_add_co_ci_u32_e32 v6, vcc_lo, v6, v10, vcc_lo
	v_mul_hi_u32 v15, v7, v2
	v_mad_u64_u32 v[11:12], null, v8, v2, 0
	v_mad_u64_u32 v[9:10], null, v7, v6, 0
	v_mad_u64_u32 v[13:14], null, v8, v6, 0
	v_add_co_u32 v2, vcc_lo, v15, v9
	v_add_co_ci_u32_e32 v6, vcc_lo, 0, v10, vcc_lo
	v_add_co_u32 v2, vcc_lo, v2, v11
	v_add_co_ci_u32_e32 v2, vcc_lo, v6, v12, vcc_lo
	v_add_co_ci_u32_e32 v6, vcc_lo, 0, v14, vcc_lo
	v_add_co_u32 v2, vcc_lo, v2, v13
	v_add_co_ci_u32_e32 v6, vcc_lo, 0, v6, vcc_lo
	v_mul_lo_u32 v11, s21, v2
	v_mad_u64_u32 v[9:10], null, s20, v2, 0
	v_mul_lo_u32 v12, s20, v6
	v_sub_co_u32 v9, vcc_lo, v7, v9
	v_add3_u32 v10, v10, v12, v11
	v_sub_nc_u32_e32 v11, v8, v10
	v_subrev_co_ci_u32_e64 v11, s0, s21, v11, vcc_lo
	v_add_co_u32 v12, s0, v2, 2
	v_add_co_ci_u32_e64 v13, s0, 0, v6, s0
	v_sub_co_u32 v14, s0, v9, s20
	v_sub_co_ci_u32_e32 v10, vcc_lo, v8, v10, vcc_lo
	v_subrev_co_ci_u32_e64 v11, s0, 0, v11, s0
	v_cmp_le_u32_e32 vcc_lo, s20, v14
	v_cmp_eq_u32_e64 s0, s21, v10
	v_cndmask_b32_e64 v14, 0, -1, vcc_lo
	v_cmp_le_u32_e32 vcc_lo, s21, v11
	v_cndmask_b32_e64 v15, 0, -1, vcc_lo
	v_cmp_le_u32_e32 vcc_lo, s20, v9
	;; [unrolled: 2-line block ×3, first 2 shown]
	v_cndmask_b32_e64 v16, 0, -1, vcc_lo
	v_cmp_eq_u32_e32 vcc_lo, s21, v11
	v_cndmask_b32_e64 v9, v16, v9, s0
	v_cndmask_b32_e32 v11, v15, v14, vcc_lo
	v_add_co_u32 v14, vcc_lo, v2, 1
	v_add_co_ci_u32_e32 v15, vcc_lo, 0, v6, vcc_lo
	v_cmp_ne_u32_e32 vcc_lo, 0, v11
	v_cndmask_b32_e32 v10, v15, v13, vcc_lo
	v_cndmask_b32_e32 v11, v14, v12, vcc_lo
	v_cmp_ne_u32_e32 vcc_lo, 0, v9
	v_cndmask_b32_e32 v10, v6, v10, vcc_lo
	v_cndmask_b32_e32 v9, v2, v11, vcc_lo
.LBB0_4:                                ;   in Loop: Header=BB0_2 Depth=1
	s_andn2_saveexec_b32 s0, s1
	s_cbranch_execz .LBB0_6
; %bb.5:                                ;   in Loop: Header=BB0_2 Depth=1
	v_cvt_f32_u32_e32 v2, s20
	s_sub_i32 s1, 0, s20
	v_rcp_iflag_f32_e32 v2, v2
	v_mul_f32_e32 v2, 0x4f7ffffe, v2
	v_cvt_u32_f32_e32 v2, v2
	v_mul_lo_u32 v6, s1, v2
	v_mul_hi_u32 v6, v2, v6
	v_add_nc_u32_e32 v2, v2, v6
	v_mul_hi_u32 v2, v7, v2
	v_mul_lo_u32 v6, v2, s20
	v_add_nc_u32_e32 v9, 1, v2
	v_sub_nc_u32_e32 v6, v7, v6
	v_subrev_nc_u32_e32 v10, s20, v6
	v_cmp_le_u32_e32 vcc_lo, s20, v6
	v_cndmask_b32_e32 v6, v6, v10, vcc_lo
	v_cndmask_b32_e32 v2, v2, v9, vcc_lo
	v_mov_b32_e32 v10, v5
	v_cmp_le_u32_e32 vcc_lo, s20, v6
	v_add_nc_u32_e32 v9, 1, v2
	v_cndmask_b32_e32 v9, v2, v9, vcc_lo
.LBB0_6:                                ;   in Loop: Header=BB0_2 Depth=1
	s_or_b32 exec_lo, exec_lo, s0
	s_load_dwordx2 s[0:1], s[6:7], 0x0
	v_mul_lo_u32 v2, v10, s20
	v_mul_lo_u32 v6, v9, s21
	v_mad_u64_u32 v[11:12], null, v9, s20, 0
	s_add_u32 s18, s18, 1
	s_addc_u32 s19, s19, 0
	s_add_u32 s6, s6, 8
	s_addc_u32 s7, s7, 0
	s_add_u32 s16, s16, 8
	s_addc_u32 s17, s17, 0
	v_add3_u32 v2, v12, v6, v2
	v_sub_co_u32 v6, vcc_lo, v7, v11
	v_sub_co_ci_u32_e32 v2, vcc_lo, v8, v2, vcc_lo
	s_waitcnt lgkmcnt(0)
	v_mul_lo_u32 v7, s1, v6
	v_mul_lo_u32 v2, s0, v2
	v_mad_u64_u32 v[3:4], null, s0, v6, v[3:4]
	v_cmp_ge_u64_e64 s0, s[18:19], s[10:11]
	s_and_b32 vcc_lo, exec_lo, s0
	v_add3_u32 v4, v7, v4, v2
	s_cbranch_vccnz .LBB0_8
; %bb.7:                                ;   in Loop: Header=BB0_2 Depth=1
	v_mov_b32_e32 v7, v9
	v_mov_b32_e32 v8, v10
	s_branch .LBB0_2
.LBB0_8:
	s_lshl_b64 s[0:1], s[10:11], 3
	v_mul_hi_u32 v2, 0x3531ded, v0
	s_add_u32 s0, s14, s0
	s_addc_u32 s1, s15, s1
	s_load_dwordx2 s[4:5], s[4:5], 0x20
	s_load_dwordx2 s[0:1], s[0:1], 0x0
                                        ; implicit-def: $vgpr77
                                        ; implicit-def: $vgpr83
                                        ; implicit-def: $vgpr82
                                        ; implicit-def: $vgpr81
	v_mul_u32_u24_e32 v2, 0x4d, v2
	v_sub_nc_u32_e32 v70, v0, v2
	v_add_nc_u32_e32 v69, 0x4d, v70
	v_add_nc_u32_e32 v71, 0x9a, v70
	;; [unrolled: 1-line block ×4, first 2 shown]
	s_waitcnt lgkmcnt(0)
	v_cmp_gt_u64_e32 vcc_lo, s[4:5], v[9:10]
	v_mul_lo_u32 v0, s0, v10
	v_mul_lo_u32 v2, s1, v9
	v_mad_u64_u32 v[4:5], null, s0, v9, v[3:4]
	v_cmp_le_u64_e64 s0, s[4:5], v[9:10]
                                        ; implicit-def: $sgpr4_sgpr5
	v_add3_u32 v5, v2, v5, v0
	s_and_saveexec_b32 s1, s0
	s_xor_b32 s0, exec_lo, s1
; %bb.9:
	v_add_nc_u32_e32 v77, 0x4d, v70
	v_add_nc_u32_e32 v83, 0x9a, v70
	;; [unrolled: 1-line block ×4, first 2 shown]
	s_mov_b64 s[4:5], 0
; %bb.10:
	s_or_saveexec_b32 s1, s0
	v_mov_b32_e32 v2, s4
	v_lshlrev_b64 v[24:25], 3, v[4:5]
	v_mov_b32_e32 v4, s4
	v_mov_b32_e32 v11, s5
	;; [unrolled: 1-line block ×7, first 2 shown]
	v_add_nc_u32_e32 v76, 0x268, v70
	v_add_nc_u32_e32 v74, 0x302, v70
	;; [unrolled: 1-line block ×3, first 2 shown]
	v_mov_b32_e32 v5, s5
	v_mov_b32_e32 v10, s4
	;; [unrolled: 1-line block ×6, first 2 shown]
                                        ; implicit-def: $vgpr7
                                        ; implicit-def: $vgpr9
                                        ; implicit-def: $vgpr15
                                        ; implicit-def: $vgpr17
                                        ; implicit-def: $vgpr49
                                        ; implicit-def: $vgpr51
                                        ; implicit-def: $vgpr53
	s_xor_b32 exec_lo, exec_lo, s1
	s_cbranch_execz .LBB0_12
; %bb.11:
	v_add_nc_u32_e32 v12, 0x21b, v70
	v_mad_u64_u32 v[2:3], null, s2, v70, 0
	v_mad_u64_u32 v[6:7], null, s2, v69, 0
	;; [unrolled: 1-line block ×4, first 2 shown]
	v_mov_b32_e32 v0, v3
	v_add_co_u32 v37, s0, s12, v24
	v_add_nc_u32_e32 v19, 0x2b5, v70
	v_mov_b32_e32 v3, v5
	v_mad_u64_u32 v[10:11], null, s3, v70, v[0:1]
	v_mov_b32_e32 v5, v7
	v_mov_b32_e32 v0, v9
	v_mad_u64_u32 v[11:12], null, s3, v12, v[3:4]
	v_add_co_ci_u32_e64 v38, s0, s13, v25, s0
	v_mad_u64_u32 v[12:13], null, s3, v69, v[5:6]
	v_mov_b32_e32 v3, v10
	v_mad_u64_u32 v[13:14], null, s2, v71, 0
	v_mov_b32_e32 v5, v11
	v_mad_u64_u32 v[9:10], null, s3, v76, v[0:1]
	v_lshlrev_b64 v[2:3], 3, v[2:3]
	v_mov_b32_e32 v7, v12
	v_lshlrev_b64 v[4:5], 3, v[4:5]
	v_mad_u64_u32 v[10:11], null, s2, v19, 0
	v_mov_b32_e32 v0, v14
	v_add_co_u32 v2, s0, v37, v2
	v_lshlrev_b64 v[6:7], 3, v[6:7]
	v_add_co_ci_u32_e64 v3, s0, v38, v3, s0
	v_add_co_u32 v4, s0, v37, v4
	v_add_nc_u32_e32 v22, 0xe7, v70
	v_add_co_ci_u32_e64 v5, s0, v38, v5, s0
	v_add_co_u32 v15, s0, v37, v6
	v_add_co_ci_u32_e64 v16, s0, v38, v7, s0
	v_lshlrev_b64 v[6:7], 3, v[8:9]
	v_mad_u64_u32 v[8:9], null, s3, v71, v[0:1]
	v_mov_b32_e32 v0, v11
	v_mad_u64_u32 v[17:18], null, s2, v22, 0
	v_add_co_u32 v11, s0, v37, v6
	v_mad_u64_u32 v[19:20], null, s3, v19, v[0:1]
	v_mov_b32_e32 v14, v8
	v_mad_u64_u32 v[20:21], null, s2, v74, 0
	v_mov_b32_e32 v0, v18
	v_add_co_ci_u32_e64 v12, s0, v38, v7, s0
	s_clause 0x3
	global_load_dwordx2 v[2:3], v[2:3], off
	global_load_dwordx2 v[6:7], v[4:5], off
	;; [unrolled: 1-line block ×4, first 2 shown]
	v_lshlrev_b64 v[12:13], 3, v[13:14]
	v_mad_u64_u32 v[14:15], null, s3, v22, v[0:1]
	v_mov_b32_e32 v11, v19
	v_mov_b32_e32 v0, v21
	v_mad_u64_u32 v[22:23], null, s2, v72, 0
	v_add_co_u32 v12, s0, v37, v12
	v_lshlrev_b64 v[10:11], 3, v[10:11]
	v_mov_b32_e32 v18, v14
	v_mad_u64_u32 v[14:15], null, s3, v74, v[0:1]
	v_add_co_ci_u32_e64 v13, s0, v38, v13, s0
	v_add_co_u32 v15, s0, v37, v10
	v_add_nc_u32_e32 v32, 0x34f, v70
	v_add_co_ci_u32_e64 v16, s0, v38, v11, s0
	v_lshlrev_b64 v[10:11], 3, v[17:18]
	v_mov_b32_e32 v21, v14
	v_mov_b32_e32 v0, v23
	v_mad_u64_u32 v[18:19], null, s2, v32, 0
	v_add_nc_u32_e32 v33, 0x181, v70
	v_add_co_u32 v26, s0, v37, v10
	v_add_co_ci_u32_e64 v27, s0, v38, v11, s0
	v_lshlrev_b64 v[10:11], 3, v[20:21]
	v_mad_u64_u32 v[20:21], null, s3, v72, v[0:1]
	v_mov_b32_e32 v0, v19
	v_mad_u64_u32 v[28:29], null, s2, v33, 0
	v_add_co_u32 v30, s0, v37, v10
	v_add_co_ci_u32_e64 v31, s0, v38, v11, s0
	v_mov_b32_e32 v23, v20
	v_mad_u64_u32 v[19:20], null, s3, v32, v[0:1]
	v_mad_u64_u32 v[20:21], null, s2, v75, 0
	v_mov_b32_e32 v0, v29
	s_clause 0x3
	global_load_dwordx2 v[10:11], v[12:13], off
	global_load_dwordx2 v[14:15], v[15:16], off
	;; [unrolled: 1-line block ×4, first 2 shown]
	v_add_nc_u32_e32 v39, 0x3e9, v70
	v_mad_u64_u32 v[30:31], null, s2, v73, 0
	v_mad_u64_u32 v[26:27], null, s3, v33, v[0:1]
	v_mov_b32_e32 v0, v21
	v_lshlrev_b64 v[22:23], 3, v[22:23]
	v_lshlrev_b64 v[18:19], 3, v[18:19]
	v_mov_b32_e32 v81, v73
	v_mov_b32_e32 v82, v72
	v_mad_u64_u32 v[32:33], null, s3, v75, v[0:1]
	v_mad_u64_u32 v[33:34], null, s2, v39, 0
	v_mov_b32_e32 v0, v31
	v_add_co_u32 v22, s0, v37, v22
	v_mov_b32_e32 v29, v26
	v_add_co_ci_u32_e64 v23, s0, v38, v23, s0
	v_mad_u64_u32 v[26:27], null, s3, v73, v[0:1]
	v_mov_b32_e32 v0, v34
	v_add_co_u32 v35, s0, v37, v18
	v_mov_b32_e32 v21, v32
	v_add_co_ci_u32_e64 v36, s0, v38, v19, s0
	v_lshlrev_b64 v[18:19], 3, v[28:29]
	v_mad_u64_u32 v[27:28], null, s3, v39, v[0:1]
	v_lshlrev_b64 v[20:21], 3, v[20:21]
	v_mov_b32_e32 v31, v26
	v_mov_b32_e32 v83, v71
	v_add_co_u32 v28, s0, v37, v18
	v_add_co_ci_u32_e64 v29, s0, v38, v19, s0
	v_mov_b32_e32 v34, v27
	v_lshlrev_b64 v[18:19], 3, v[30:31]
	v_add_co_u32 v26, s0, v37, v20
	v_add_co_ci_u32_e64 v27, s0, v38, v21, s0
	v_lshlrev_b64 v[20:21], 3, v[33:34]
	v_add_co_u32 v30, s0, v37, v18
	v_add_co_ci_u32_e64 v31, s0, v38, v19, s0
	v_mov_b32_e32 v77, v69
	v_add_co_u32 v32, s0, v37, v20
	v_add_co_ci_u32_e64 v33, s0, v38, v21, s0
	s_clause 0x5
	global_load_dwordx2 v[18:19], v[22:23], off
	global_load_dwordx2 v[48:49], v[35:36], off
	;; [unrolled: 1-line block ×6, first 2 shown]
.LBB0_12:
	s_or_b32 exec_lo, exec_lo, s1
	v_mul_hi_u32 v0, 0xaaaaaaab, v1
	s_waitcnt vmcnt(12)
	v_sub_f32_e32 v32, v2, v6
	s_waitcnt vmcnt(10)
	v_sub_f32_e32 v34, v4, v8
	;; [unrolled: 2-line block ×7, first 2 shown]
	v_lshrrev_b32_e32 v0, 1, v0
	v_fma_f32 v31, v2, 2.0, -v32
	v_fma_f32 v33, v4, 2.0, -v34
	;; [unrolled: 1-line block ×4, first 2 shown]
	v_lshl_add_u32 v0, v0, 1, v0
	v_fma_f32 v39, v18, 2.0, -v40
	v_fma_f32 v27, v20, 2.0, -v28
	;; [unrolled: 1-line block ×3, first 2 shown]
	v_cmp_gt_u32_e64 s0, 21, v70
	v_sub_nc_u32_e32 v0, v1, v0
	v_lshlrev_b32_e32 v1, 2, v70
	v_lshlrev_b32_e32 v84, 2, v77
                                        ; implicit-def: $vgpr47
                                        ; implicit-def: $vgpr43
                                        ; implicit-def: $vgpr46
	v_mul_u32_u24_e32 v0, 0x436, v0
	v_lshlrev_b32_e32 v80, 2, v0
	v_add_nc_u32_e32 v0, 0, v80
	v_add3_u32 v79, 0, v1, v80
	v_lshl_add_u32 v2, v70, 3, v0
	v_add_nc_u32_e32 v78, v0, v1
	v_lshl_add_u32 v14, v77, 3, v0
	v_lshl_add_u32 v12, v83, 3, v0
	;; [unrolled: 1-line block ×4, first 2 shown]
	v_add_nc_u32_e32 v0, 0x400, v79
	v_add_nc_u32_e32 v1, 0x600, v79
	;; [unrolled: 1-line block ×4, first 2 shown]
	ds_write_b64 v2, v[31:32]
	ds_write_b64 v14, v[33:34]
	;; [unrolled: 1-line block ×3, first 2 shown]
	ds_write_b64 v2, v[37:38] offset:1848
	ds_write_b64 v10, v[39:40]
	ds_write_b64 v2, v[27:28] offset:3080
	ds_write_b64 v6, v[29:30]
	s_waitcnt lgkmcnt(0)
	s_barrier
	buffer_gl0_inv
	ds_read_b32 v87, v78
	ds_read2_b32 v[41:42], v79 offset0:98 offset1:196
	ds_read2_b32 v[37:38], v0 offset0:38 offset1:136
	;; [unrolled: 1-line block ×5, first 2 shown]
                                        ; implicit-def: $vgpr40
	s_and_saveexec_b32 s1, s0
	s_cbranch_execz .LBB0_14
; %bb.13:
	v_add3_u32 v16, 0, v84, v80
	v_add_nc_u32_e32 v18, 0x200, v79
	v_add_nc_u32_e32 v20, 0x800, v79
	v_add_nc_u32_e32 v22, 0xe00, v79
	ds_read_b32 v28, v16
	ds_read2_b32 v[29:30], v18 offset0:47 offset1:145
	ds_read2_b32 v[47:48], v0 offset0:115 offset1:213
	;; [unrolled: 1-line block ×5, first 2 shown]
.LBB0_14:
	s_or_b32 exec_lo, exec_lo, s1
	v_sub_f32_e32 v16, v3, v7
	v_sub_f32_e32 v18, v5, v9
	;; [unrolled: 1-line block ×5, first 2 shown]
	v_fma_f32 v15, v3, 2.0, -v16
	v_sub_f32_e32 v27, v21, v51
	v_sub_f32_e32 v50, v23, v53
	v_fma_f32 v17, v5, 2.0, -v18
	v_fma_f32 v51, v11, 2.0, -v52
	;; [unrolled: 1-line block ×6, first 2 shown]
	s_waitcnt lgkmcnt(0)
	s_barrier
	buffer_gl0_inv
	ds_write_b64 v2, v[15:16]
	ds_write_b64 v14, v[17:18]
	;; [unrolled: 1-line block ×3, first 2 shown]
	ds_write_b64 v2, v[53:54] offset:1848
	ds_write_b64 v10, v[19:20]
	ds_write_b64 v2, v[26:27] offset:3080
	ds_write_b64 v6, v[49:50]
	s_waitcnt lgkmcnt(0)
	s_barrier
	buffer_gl0_inv
	ds_read_b32 v85, v78
	ds_read2_b32 v[61:62], v79 offset0:98 offset1:196
	ds_read2_b32 v[57:58], v0 offset0:38 offset1:136
	;; [unrolled: 1-line block ×5, first 2 shown]
                                        ; implicit-def: $vgpr67
                                        ; implicit-def: $vgpr63
                                        ; implicit-def: $vgpr60
                                        ; implicit-def: $vgpr66
	s_and_saveexec_b32 s1, s0
	s_cbranch_execz .LBB0_16
; %bb.15:
	v_add3_u32 v0, 0, v84, v80
	v_add_nc_u32_e32 v1, 0x200, v79
	v_add_nc_u32_e32 v2, 0x400, v79
	;; [unrolled: 1-line block ×4, first 2 shown]
	ds_read_b32 v27, v0
	v_add_nc_u32_e32 v0, 0xe00, v79
	ds_read2_b32 v[49:50], v1 offset0:47 offset1:145
	ds_read2_b32 v[67:68], v2 offset0:115 offset1:213
	;; [unrolled: 1-line block ×5, first 2 shown]
.LBB0_16:
	s_or_b32 exec_lo, exec_lo, s1
	v_and_b32_e32 v86, 1, v70
	v_and_b32_e32 v26, 1, v77
	v_mul_u32_u24_e32 v0, 10, v86
	v_mul_u32_u24_e32 v17, 10, v26
	v_lshlrev_b32_e32 v16, 3, v0
	v_lshlrev_b32_e32 v88, 3, v17
	s_clause 0x9
	global_load_dwordx4 v[4:7], v16, s[8:9]
	global_load_dwordx4 v[0:3], v16, s[8:9] offset:16
	global_load_dwordx4 v[12:15], v16, s[8:9] offset:32
	;; [unrolled: 1-line block ×4, first 2 shown]
	global_load_dwordx4 v[20:23], v88, s[8:9]
	global_load_dwordx4 v[97:100], v88, s[8:9] offset:16
	global_load_dwordx4 v[101:104], v88, s[8:9] offset:32
	;; [unrolled: 1-line block ×4, first 2 shown]
	v_lshrrev_b32_e32 v88, 1, v70
	s_waitcnt vmcnt(0) lgkmcnt(0)
	s_barrier
	buffer_gl0_inv
	v_mul_u32_u24_e32 v88, 22, v88
	v_or_b32_e32 v86, v88, v86
	v_lshlrev_b32_e32 v88, 2, v86
	v_lshrrev_b32_e32 v86, 1, v77
	v_add3_u32 v89, 0, v88, v80
	v_mul_f32_e32 v92, v31, v17
	v_mul_f32_e32 v95, v61, v5
	;; [unrolled: 1-line block ×28, first 2 shown]
	v_fma_f32 v96, v41, v4, -v95
	v_mul_f32_e32 v108, v60, v112
	v_fmac_f32_e32 v94, v61, v4
	v_fmac_f32_e32 v93, v62, v6
	;; [unrolled: 1-line block ×10, first 2 shown]
	v_mul_f32_e32 v122, v49, v21
	v_mul_f32_e32 v90, v29, v21
	;; [unrolled: 1-line block ×9, first 2 shown]
	v_fma_f32 v95, v42, v6, -v113
	v_mul_f32_e32 v41, v39, v110
	v_mul_f32_e32 v42, v40, v112
	v_fma_f32 v61, v37, v0, -v114
	v_fma_f32 v4, v38, v2, -v115
	v_fma_f32 v0, v35, v12, -v116
	v_fma_f32 v2, v36, v14, -v117
	v_fma_f32 v6, v33, v8, -v118
	v_fma_f32 v33, v34, v10, -v119
	v_fma_f32 v8, v31, v16, -v120
	v_fma_f32 v10, v32, v18, -v121
	v_fma_f32 v32, v30, v22, -v123
	v_fmac_f32_e32 v88, v50, v22
	v_fma_f32 v14, v44, v103, -v100
	v_fma_f32 v31, v46, v107, -v104
	;; [unrolled: 1-line block ×3, first 2 shown]
	v_sub_f32_e32 v22, v94, v11
	v_sub_f32_e32 v30, v93, v92
	;; [unrolled: 1-line block ×5, first 2 shown]
	v_add_f32_e32 v46, v87, v96
	v_fma_f32 v36, v29, v20, -v122
	v_fmac_f32_e32 v90, v49, v20
	v_fma_f32 v20, v47, v97, -v124
	v_fma_f32 v16, v48, v99, -v125
	v_fmac_f32_e32 v21, v67, v97
	v_fma_f32 v12, v43, v101, -v98
	v_fmac_f32_e32 v13, v63, v101
	v_fmac_f32_e32 v15, v64, v103
	v_fma_f32 v18, v45, v105, -v102
	v_fmac_f32_e32 v19, v65, v105
	;; [unrolled: 3-line block ×3, first 2 shown]
	v_fmac_f32_e32 v42, v60, v111
	v_add_f32_e32 v29, v96, v10
	v_add_f32_e32 v35, v95, v8
	;; [unrolled: 1-line block ×5, first 2 shown]
	v_mul_f32_e32 v47, 0xbf0a6770, v22
	v_mul_f32_e32 v48, 0xbf68dda4, v22
	;; [unrolled: 1-line block ×25, first 2 shown]
	v_add_f32_e32 v46, v46, v95
	v_fmac_f32_e32 v17, v68, v99
	v_fma_f32 v68, 0x3f575c64, v29, -v47
	v_fmac_f32_e32 v47, 0x3f575c64, v29
	v_fma_f32 v97, 0x3ed4b147, v29, -v48
	;; [unrolled: 2-line block ×25, first 2 shown]
	v_fmac_f32_e32 v44, 0xbe11bafb, v45
	v_add_f32_e32 v45, v46, v61
	v_add_f32_e32 v22, v87, v22
	v_add_f32_e32 v46, v87, v68
	v_add_f32_e32 v47, v87, v47
	v_add_f32_e32 v68, v87, v97
	v_add_f32_e32 v45, v45, v4
	v_add_f32_e32 v22, v30, v22
	v_add_f32_e32 v97, v87, v98
	v_add_f32_e32 v48, v87, v48
	v_add_f32_e32 v49, v87, v49
	v_add_f32_e32 v30, v45, v0
	v_add_f32_e32 v98, v87, v99
	v_add_f32_e32 v99, v87, v100
	v_add_f32_e32 v50, v87, v50
	v_add_f32_e32 v29, v29, v46
	v_add_f32_e32 v30, v30, v2
	v_add_f32_e32 v46, v51, v47
	v_add_f32_e32 v47, v101, v68
	v_add_f32_e32 v51, v102, v97
	v_add_f32_e32 v48, v52, v48
	v_add_f32_e32 v49, v53, v49
	v_add_f32_e32 v52, v103, v98
	v_add_f32_e32 v53, v104, v99
	v_add_f32_e32 v50, v54, v50
	v_add_f32_e32 v30, v30, v6
	v_add_f32_e32 v45, v105, v47
	v_add_f32_e32 v47, v106, v51
	v_add_f32_e32 v29, v35, v29
	v_add_f32_e32 v35, v55, v46
	v_add_f32_e32 v46, v56, v48
	v_add_f32_e32 v48, v57, v49
	v_add_f32_e32 v49, v107, v52
	v_add_f32_e32 v51, v108, v53
	v_add_f32_e32 v50, v58, v50
	v_add_f32_e32 v22, v38, v22
	v_add_f32_e32 v30, v30, v33
	v_add_f32_e32 v38, v109, v45
	v_add_f32_e32 v45, v110, v47
	v_add_f32_e32 v29, v39, v29
	v_add_f32_e32 v47, v111, v49
	v_add_f32_e32 v49, v112, v51
	v_add_f32_e32 v39, v60, v46
	v_add_f32_e32 v46, v62, v48
	v_add_f32_e32 v48, v63, v50
	v_add_f32_e32 v22, v40, v22
	v_add_f32_e32 v30, v30, v8
	v_add_f32_e32 v35, v59, v35
	v_add_f32_e32 v38, v113, v38
	v_add_f32_e32 v40, v114, v45
	v_add_f32_e32 v29, v43, v29
	v_add_f32_e32 v43, v115, v47
	v_add_f32_e32 v47, v116, v49
	v_add_f32_e32 v45, v67, v48
	v_add_f32_e32 v22, v44, v22
	v_add_f32_e32 v39, v65, v39
	v_add_f32_e32 v44, v66, v46
	v_add_f32_e32 v30, v30, v10
	v_add_f32_e32 v35, v64, v35
	ds_write2_b32 v89, v38, v40 offset0:4 offset1:6
	ds_write2_b32 v89, v43, v47 offset0:8 offset1:10
	;; [unrolled: 1-line block ×4, first 2 shown]
	ds_write2_b32 v89, v30, v29 offset1:2
	ds_write_b32 v89, v35 offset:80
	s_and_saveexec_b32 s1, s0
	s_cbranch_execz .LBB0_18
; %bb.17:
	v_sub_f32_e32 v22, v90, v42
	v_add_f32_e32 v29, v36, v37
	v_sub_f32_e32 v35, v88, v41
	v_add_f32_e32 v30, v32, v34
	v_sub_f32_e32 v40, v21, v23
	v_mul_f32_e32 v39, 0xbe903f40, v22
	v_add_f32_e32 v38, v20, v31
	v_mul_f32_e32 v45, 0x3f0a6770, v35
	v_sub_f32_e32 v44, v17, v19
	v_mul_f32_e32 v49, 0xbf4178ce, v40
	v_fmamk_f32 v46, v29, 0xbf75a155, v39
	v_fma_f32 v39, 0xbf75a155, v29, -v39
	v_fmamk_f32 v50, v30, 0x3f575c64, v45
	v_fma_f32 v45, 0x3f575c64, v30, -v45
	v_add_f32_e32 v43, v16, v18
	v_add_f32_e32 v46, v28, v46
	;; [unrolled: 1-line block ×3, first 2 shown]
	v_sub_f32_e32 v48, v13, v15
	v_mul_f32_e32 v51, 0x3f68dda4, v44
	v_fmamk_f32 v53, v38, 0xbf27a4f4, v49
	v_add_f32_e32 v46, v50, v46
	v_fma_f32 v49, 0xbf27a4f4, v38, -v49
	v_add_f32_e32 v39, v45, v39
	v_add_f32_e32 v47, v12, v14
	v_mul_f32_e32 v52, 0xbf7d64f0, v48
	v_mul_f32_e32 v50, 0xbf4178ce, v22
	v_fmamk_f32 v54, v43, 0x3ed4b147, v51
	v_add_f32_e32 v46, v53, v46
	v_fma_f32 v51, 0x3ed4b147, v43, -v51
	v_add_f32_e32 v39, v49, v39
	v_fmamk_f32 v53, v47, 0xbe11bafb, v52
	v_fmamk_f32 v45, v29, 0xbf27a4f4, v50
	v_add_f32_e32 v46, v54, v46
	v_mul_f32_e32 v54, 0x3f7d64f0, v35
	v_add_f32_e32 v39, v51, v39
	v_fma_f32 v51, 0xbe11bafb, v47, -v52
	v_fma_f32 v50, 0xbf27a4f4, v29, -v50
	v_add_f32_e32 v46, v53, v46
	v_mul_f32_e32 v53, 0xbf0a6770, v40
	v_add_f32_e32 v45, v28, v45
	v_add_f32_e32 v39, v51, v39
	;; [unrolled: 1-line block ×3, first 2 shown]
	v_fma_f32 v51, 0xbe11bafb, v30, -v54
	v_fmamk_f32 v49, v30, 0xbe11bafb, v54
	v_mul_f32_e32 v52, 0xbe903f40, v44
	v_mul_f32_e32 v54, 0xbf7d64f0, v22
	;; [unrolled: 1-line block ×3, first 2 shown]
	v_add_f32_e32 v50, v51, v50
	v_fma_f32 v51, 0x3f575c64, v38, -v53
	v_add_f32_e32 v45, v49, v45
	v_fmamk_f32 v49, v38, 0x3f575c64, v53
	v_mul_f32_e32 v53, 0x3e903f40, v35
	v_mul_f32_e32 v55, 0x3f68dda4, v48
	v_add_f32_e32 v50, v51, v50
	v_fma_f32 v51, 0xbf75a155, v43, -v52
	v_add_f32_e32 v45, v49, v45
	v_fmamk_f32 v49, v43, 0xbf75a155, v52
	v_fmamk_f32 v52, v30, 0xbf75a155, v53
	v_fma_f32 v53, 0xbf75a155, v30, -v53
	v_add_f32_e32 v50, v51, v50
	v_fma_f32 v51, 0xbe11bafb, v29, -v54
	v_add_f32_e32 v45, v49, v45
	v_fmamk_f32 v49, v29, 0xbe11bafb, v54
	v_mul_f32_e32 v54, 0xbf0a6770, v44
	v_fmamk_f32 v56, v47, 0x3ed4b147, v55
	v_add_f32_e32 v51, v28, v51
	v_fma_f32 v55, 0x3ed4b147, v47, -v55
	v_add_f32_e32 v49, v28, v49
	v_mul_f32_e32 v58, 0x3e903f40, v40
	v_add_f32_e32 v45, v56, v45
	v_add_f32_e32 v51, v53, v51
	v_fma_f32 v53, 0x3ed4b147, v38, -v57
	v_add_f32_e32 v49, v52, v49
	v_fmamk_f32 v52, v38, 0x3ed4b147, v57
	v_mul_f32_e32 v57, 0xbf4178ce, v48
	v_mul_f32_e32 v56, 0xbf68dda4, v22
	v_add_f32_e32 v51, v53, v51
	v_fma_f32 v53, 0x3f575c64, v43, -v54
	v_add_f32_e32 v49, v52, v49
	v_fmamk_f32 v59, v47, 0xbf27a4f4, v57
	v_fma_f32 v57, 0xbf27a4f4, v47, -v57
	v_fmamk_f32 v52, v43, 0x3f575c64, v54
	v_add_f32_e32 v51, v53, v51
	v_add_f32_e32 v50, v55, v50
	v_mul_f32_e32 v55, 0xbf4178ce, v35
	v_fma_f32 v53, 0x3ed4b147, v29, -v56
	v_add_f32_e32 v49, v52, v49
	v_add_f32_e32 v51, v57, v51
	;; [unrolled: 1-line block ×3, first 2 shown]
	v_fmamk_f32 v52, v29, 0x3ed4b147, v56
	v_fmamk_f32 v54, v30, 0xbf27a4f4, v55
	v_add_f32_e32 v53, v28, v53
	v_fma_f32 v55, 0xbf27a4f4, v30, -v55
	v_add_f32_e32 v57, v57, v32
	v_add_f32_e32 v52, v28, v52
	v_mul_f32_e32 v56, 0x3f7d64f0, v44
	v_mul_f32_e32 v22, 0xbf0a6770, v22
	v_add_f32_e32 v53, v55, v53
	v_fma_f32 v55, 0xbf75a155, v38, -v58
	v_add_f32_e32 v57, v57, v20
	v_add_f32_e32 v52, v54, v52
	v_fmamk_f32 v54, v38, 0xbf75a155, v58
	v_fmamk_f32 v58, v29, 0x3f575c64, v22
	v_add_f32_e32 v53, v55, v53
	v_fma_f32 v55, 0xbe11bafb, v43, -v56
	v_fma_f32 v22, 0x3f575c64, v29, -v22
	v_add_f32_e32 v29, v57, v16
	v_mul_f32_e32 v35, 0xbf68dda4, v35
	v_mul_f32_e32 v40, 0xbf7d64f0, v40
	v_add_f32_e32 v53, v55, v53
	v_add_f32_e32 v55, v28, v58
	;; [unrolled: 1-line block ×4, first 2 shown]
	v_fma_f32 v29, 0x3ed4b147, v30, -v35
	v_fmamk_f32 v57, v30, 0x3ed4b147, v35
	v_fmamk_f32 v35, v38, 0xbe11bafb, v40
	v_mul_f32_e32 v44, 0xbf4178ce, v44
	v_add_f32_e32 v28, v28, v14
	v_add_f32_e32 v22, v29, v22
	v_fma_f32 v29, 0xbe11bafb, v38, -v40
	v_mul_lo_u32 v38, v86, 22
	v_add_f32_e32 v30, v57, v55
	v_add_f32_e32 v28, v28, v18
	;; [unrolled: 1-line block ×3, first 2 shown]
	v_fmamk_f32 v54, v43, 0xbe11bafb, v56
	v_add_f32_e32 v22, v29, v22
	v_add_f32_e32 v30, v35, v30
	v_fma_f32 v29, 0xbf27a4f4, v43, -v44
	v_mul_f32_e32 v35, 0xbe903f40, v48
	v_add_f32_e32 v28, v28, v31
	v_or_b32_e32 v38, v38, v26
	v_add_f32_e32 v52, v54, v52
	v_mul_f32_e32 v54, 0x3f0a6770, v48
	v_fmamk_f32 v43, v43, 0xbf27a4f4, v44
	v_add_f32_e32 v22, v29, v22
	v_fma_f32 v29, 0xbf75a155, v47, -v35
	v_add_f32_e32 v28, v28, v34
	v_lshlrev_b32_e32 v38, 2, v38
	v_fma_f32 v40, 0x3f575c64, v47, -v54
	v_fmamk_f32 v56, v47, 0x3f575c64, v54
	v_add_f32_e32 v30, v43, v30
	v_fmamk_f32 v35, v47, 0xbf75a155, v35
	v_add_f32_e32 v22, v29, v22
	v_add_f32_e32 v28, v28, v37
	v_add3_u32 v29, 0, v38, v80
	v_add_f32_e32 v38, v40, v53
	v_add_f32_e32 v40, v59, v49
	v_add_f32_e32 v43, v56, v52
	v_add_f32_e32 v30, v35, v30
	ds_write2_b32 v29, v28, v22 offset1:2
	ds_write2_b32 v29, v38, v51 offset0:4 offset1:6
	ds_write2_b32 v29, v50, v39 offset0:8 offset1:10
	;; [unrolled: 1-line block ×4, first 2 shown]
	ds_write_b32 v29, v30 offset:80
.LBB0_18:
	s_or_b32 exec_lo, exec_lo, s1
	v_add_f32_e32 v22, v85, v94
	v_sub_f32_e32 v10, v96, v10
	v_add_f32_e32 v28, v94, v11
	v_sub_f32_e32 v8, v95, v8
	v_add_f32_e32 v29, v93, v92
	v_add_f32_e32 v22, v22, v93
	v_mul_f32_e32 v30, 0xbf0a6770, v10
	v_mul_f32_e32 v35, 0xbf68dda4, v10
	;; [unrolled: 1-line block ×4, first 2 shown]
	v_add_f32_e32 v22, v22, v91
	v_mul_f32_e32 v10, 0xbe903f40, v10
	v_mul_f32_e32 v40, 0xbf68dda4, v8
	v_fmamk_f32 v45, v28, 0x3f575c64, v30
	v_mul_f32_e32 v43, 0xbf4178ce, v8
	v_add_f32_e32 v22, v22, v5
	v_fma_f32 v30, 0x3f575c64, v28, -v30
	v_fmamk_f32 v46, v28, 0x3ed4b147, v35
	v_fma_f32 v35, 0x3ed4b147, v28, -v35
	v_fmamk_f32 v47, v28, 0xbe11bafb, v38
	v_add_f32_e32 v22, v22, v1
	v_fma_f32 v38, 0xbe11bafb, v28, -v38
	v_fmamk_f32 v48, v28, 0xbf27a4f4, v39
	v_fma_f32 v39, 0xbf27a4f4, v28, -v39
	v_fmamk_f32 v49, v28, 0xbf75a155, v10
	v_add_f32_e32 v22, v22, v3
	v_fma_f32 v10, 0xbf75a155, v28, -v10
	v_fmamk_f32 v28, v29, 0x3ed4b147, v40
	v_add_f32_e32 v45, v85, v45
	v_mul_f32_e32 v44, 0x3e903f40, v8
	v_add_f32_e32 v22, v22, v7
	v_add_f32_e32 v35, v85, v35
	v_fma_f32 v40, 0x3ed4b147, v29, -v40
	v_add_f32_e32 v28, v28, v45
	v_fmamk_f32 v50, v29, 0xbf27a4f4, v43
	v_add_f32_e32 v22, v22, v9
	v_add_f32_e32 v30, v85, v30
	;; [unrolled: 1-line block ×4, first 2 shown]
	v_sub_f32_e32 v33, v61, v33
	v_add_f32_e32 v22, v22, v92
	v_add_f32_e32 v39, v85, v39
	v_add_f32_e32 v49, v85, v49
	v_add_f32_e32 v9, v91, v9
	v_add_f32_e32 v10, v85, v10
	v_add_f32_e32 v45, v22, v11
	v_fma_f32 v11, 0xbf27a4f4, v29, -v43
	v_fma_f32 v43, 0xbf75a155, v29, -v44
	v_add_f32_e32 v22, v40, v30
	v_fmamk_f32 v30, v29, 0xbf75a155, v44
	v_add_f32_e32 v40, v50, v46
	v_add_f32_e32 v11, v11, v35
	v_mul_f32_e32 v35, 0x3f7d64f0, v8
	v_mul_f32_e32 v8, 0x3f0a6770, v8
	v_add_f32_e32 v38, v43, v38
	v_mul_f32_e32 v46, 0xbf7d64f0, v33
	v_add_f32_e32 v47, v85, v47
	v_fmamk_f32 v43, v29, 0xbe11bafb, v35
	v_fma_f32 v35, 0xbe11bafb, v29, -v35
	v_fmamk_f32 v44, v29, 0x3f575c64, v8
	v_fma_f32 v8, 0x3f575c64, v29, -v8
	v_add_f32_e32 v30, v30, v47
	v_sub_f32_e32 v4, v4, v6
	v_add_f32_e32 v29, v35, v39
	v_add_f32_e32 v35, v44, v49
	v_fmamk_f32 v39, v9, 0xbe11bafb, v46
	v_mul_f32_e32 v44, 0x3e903f40, v33
	v_add_f32_e32 v8, v8, v10
	v_fma_f32 v10, 0xbe11bafb, v9, -v46
	v_mul_f32_e32 v46, 0x3f68dda4, v33
	v_add_f32_e32 v28, v39, v28
	v_fmamk_f32 v39, v9, 0xbf75a155, v44
	v_mul_f32_e32 v6, 0xbf4178ce, v33
	v_add_f32_e32 v10, v10, v22
	v_fmamk_f32 v22, v9, 0x3ed4b147, v46
	v_fma_f32 v46, 0x3ed4b147, v9, -v46
	v_add_f32_e32 v39, v39, v40
	v_mul_f32_e32 v40, 0xbf0a6770, v33
	v_add_f32_e32 v5, v5, v7
	v_add_f32_e32 v22, v22, v30
	;; [unrolled: 1-line block ×3, first 2 shown]
	v_mul_f32_e32 v7, 0xbf4178ce, v4
	v_fma_f32 v38, 0x3f575c64, v9, -v40
	v_fma_f32 v44, 0xbf75a155, v9, -v44
	v_fmamk_f32 v33, v9, 0x3f575c64, v40
	v_fmamk_f32 v40, v9, 0xbf27a4f4, v6
	v_fma_f32 v6, 0xbf27a4f4, v9, -v6
	v_add_f32_e32 v9, v38, v29
	v_fmamk_f32 v29, v5, 0xbf27a4f4, v7
	v_fma_f32 v7, 0xbf27a4f4, v5, -v7
	v_mul_f32_e32 v38, 0x3f7d64f0, v4
	v_add_f32_e32 v6, v6, v8
	v_add_f32_e32 v48, v85, v48
	;; [unrolled: 1-line block ×3, first 2 shown]
	v_mul_f32_e32 v28, 0xbf0a6770, v4
	v_add_f32_e32 v7, v7, v10
	v_mul_f32_e32 v10, 0xbe903f40, v4
	v_mul_f32_e32 v4, 0x3f68dda4, v4
	v_sub_f32_e32 v0, v0, v2
	v_add_f32_e32 v35, v40, v35
	v_add_f32_e32 v43, v43, v48
	;; [unrolled: 1-line block ×3, first 2 shown]
	v_fmamk_f32 v2, v5, 0x3ed4b147, v4
	v_mul_f32_e32 v1, 0xbe903f40, v0
	v_add_f32_e32 v11, v44, v11
	v_fmamk_f32 v29, v5, 0xbe11bafb, v38
	v_fma_f32 v38, 0xbe11bafb, v5, -v38
	v_fma_f32 v4, 0x3ed4b147, v5, -v4
	v_add_f32_e32 v49, v2, v35
	v_mul_f32_e32 v2, 0x3f0a6770, v0
	v_fmamk_f32 v40, v5, 0x3f575c64, v28
	v_mul_f32_e32 v51, 0xbf4178ce, v0
	v_fmamk_f32 v3, v48, 0xbf75a155, v1
	v_fma_f32 v1, 0xbf75a155, v48, -v1
	v_add_f32_e32 v11, v38, v11
	v_add_f32_e32 v50, v4, v6
	v_fmamk_f32 v4, v48, 0x3f575c64, v2
	v_fma_f32 v2, 0x3f575c64, v48, -v2
	v_add_f32_e32 v29, v29, v39
	v_fma_f32 v28, 0x3f575c64, v5, -v28
	v_fmamk_f32 v38, v5, 0xbf75a155, v10
	v_add_f32_e32 v22, v40, v22
	v_fma_f32 v10, 0xbf75a155, v5, -v10
	v_fmamk_f32 v5, v48, 0xbf27a4f4, v51
	v_add_f32_e32 v53, v1, v7
	v_lshlrev_b32_e32 v1, 2, v82
	v_add_f32_e32 v55, v2, v11
	v_lshlrev_b32_e32 v2, 2, v81
	v_add_f32_e32 v33, v33, v43
	v_add_f32_e32 v54, v4, v29
	;; [unrolled: 1-line block ×3, first 2 shown]
	v_mul_f32_e32 v57, 0x3f68dda4, v0
	v_mul_f32_e32 v58, 0xbf7d64f0, v0
	v_lshlrev_b32_e32 v0, 2, v83
	v_add_nc_u32_e32 v22, 0x800, v79
	v_add_nc_u32_e32 v29, 0xc00, v79
	v_add_f32_e32 v44, v28, v30
	v_add_f32_e32 v52, v3, v8
	v_add_nc_u32_e32 v28, 0xa00, v79
	v_add3_u32 v8, 0, v1, v80
	v_add_f32_e32 v47, v10, v9
	v_add3_u32 v9, 0, v2, v80
	v_add3_u32 v11, 0, v84, v80
	v_add_nc_u32_e32 v30, 0x300, v79
	v_add_f32_e32 v46, v38, v33
	s_waitcnt lgkmcnt(0)
	s_barrier
	buffer_gl0_inv
	ds_read_b32 v33, v78
	v_add3_u32 v10, 0, v0, v80
	ds_read2_b32 v[2:3], v22 offset0:27 offset1:104
	ds_read2_b32 v[0:1], v28 offset0:53 offset1:130
	;; [unrolled: 1-line block ×3, first 2 shown]
	ds_read_b32 v40, v8
	ds_read_b32 v39, v9
	;; [unrolled: 1-line block ×3, first 2 shown]
	ds_read2_b32 v[6:7], v30 offset0:39 offset1:193
	ds_read_b32 v43, v10
	ds_read_b32 v38, v79 offset:4004
	v_fmamk_f32 v59, v48, 0x3ed4b147, v57
	v_fmamk_f32 v60, v48, 0xbe11bafb, v58
	v_fma_f32 v51, 0xbf27a4f4, v48, -v51
	v_fma_f32 v57, 0x3ed4b147, v48, -v57
	;; [unrolled: 1-line block ×3, first 2 shown]
	v_add_f32_e32 v46, v59, v46
	v_add_f32_e32 v49, v60, v49
	;; [unrolled: 1-line block ×5, first 2 shown]
	s_waitcnt lgkmcnt(0)
	s_barrier
	buffer_gl0_inv
	ds_write2_b32 v89, v45, v52 offset1:2
	ds_write2_b32 v89, v54, v56 offset0:4 offset1:6
	ds_write2_b32 v89, v46, v49 offset0:8 offset1:10
	;; [unrolled: 1-line block ×4, first 2 shown]
	ds_write_b32 v89, v53 offset:80
	s_and_saveexec_b32 s1, s0
	s_cbranch_execz .LBB0_20
; %bb.19:
	v_add_f32_e32 v44, v27, v90
	v_sub_f32_e32 v32, v32, v34
	v_sub_f32_e32 v36, v36, v37
	v_add_f32_e32 v37, v90, v42
	v_add_f32_e32 v45, v88, v41
	v_add_f32_e32 v34, v44, v88
	v_mul_f32_e32 v49, 0xbf68dda4, v32
	v_mul_f32_e32 v44, 0xbf0a6770, v36
	;; [unrolled: 1-line block ×4, first 2 shown]
	v_add_f32_e32 v34, v34, v21
	v_mul_f32_e32 v48, 0xbf4178ce, v36
	v_mul_f32_e32 v36, 0xbe903f40, v36
	v_fmamk_f32 v52, v37, 0x3f575c64, v44
	v_mul_f32_e32 v50, 0xbf4178ce, v32
	v_add_f32_e32 v34, v34, v17
	v_fma_f32 v44, 0x3f575c64, v37, -v44
	v_fmamk_f32 v53, v37, 0x3ed4b147, v46
	v_fma_f32 v46, 0x3ed4b147, v37, -v46
	v_fmamk_f32 v54, v37, 0xbe11bafb, v47
	v_add_f32_e32 v34, v34, v13
	v_fma_f32 v47, 0xbe11bafb, v37, -v47
	v_fmamk_f32 v55, v37, 0xbf27a4f4, v48
	v_fma_f32 v48, 0xbf27a4f4, v37, -v48
	v_fmamk_f32 v56, v37, 0xbf75a155, v36
	v_add_f32_e32 v34, v34, v15
	v_fma_f32 v36, 0xbf75a155, v37, -v36
	v_fmamk_f32 v37, v45, 0x3ed4b147, v49
	v_add_f32_e32 v52, v27, v52
	v_mul_f32_e32 v51, 0x3e903f40, v32
	v_add_f32_e32 v34, v34, v19
	v_add_f32_e32 v44, v27, v44
	;; [unrolled: 1-line block ×8, first 2 shown]
	v_fmamk_f32 v57, v45, 0xbf27a4f4, v50
	v_sub_f32_e32 v20, v20, v31
	v_add_f32_e32 v34, v34, v41
	v_add_f32_e32 v41, v27, v48
	;; [unrolled: 1-line block ×5, first 2 shown]
	v_fma_f32 v37, 0xbf27a4f4, v45, -v50
	v_fma_f32 v50, 0xbf75a155, v45, -v51
	;; [unrolled: 1-line block ×3, first 2 shown]
	v_add_f32_e32 v21, v21, v23
	v_mul_f32_e32 v23, 0xbf7d64f0, v20
	v_add_f32_e32 v37, v37, v46
	v_mul_f32_e32 v46, 0x3f7d64f0, v32
	v_mul_f32_e32 v32, 0x3f0a6770, v32
	v_add_f32_e32 v47, v50, v47
	v_add_f32_e32 v34, v34, v42
	;; [unrolled: 1-line block ×3, first 2 shown]
	v_fmamk_f32 v31, v45, 0xbe11bafb, v46
	v_fma_f32 v46, 0xbe11bafb, v45, -v46
	v_fmamk_f32 v50, v45, 0x3f575c64, v32
	v_fmamk_f32 v44, v45, 0xbf75a155, v51
	v_fma_f32 v32, 0x3f575c64, v45, -v32
	v_sub_f32_e32 v16, v16, v18
	v_add_f32_e32 v41, v46, v41
	v_add_f32_e32 v45, v50, v48
	v_fmamk_f32 v46, v21, 0xbe11bafb, v23
	v_mul_f32_e32 v48, 0x3e903f40, v20
	v_add_f32_e32 v27, v32, v27
	v_fma_f32 v23, 0xbe11bafb, v21, -v23
	v_mul_f32_e32 v32, 0x3f68dda4, v20
	v_add_f32_e32 v36, v46, v36
	v_fmamk_f32 v46, v21, 0xbf75a155, v48
	v_fma_f32 v48, 0xbf75a155, v21, -v48
	v_add_f32_e32 v44, v44, v54
	v_add_f32_e32 v23, v23, v42
	v_fmamk_f32 v42, v21, 0x3ed4b147, v32
	v_add_f32_e32 v31, v31, v55
	v_add_f32_e32 v37, v48, v37
	v_mul_f32_e32 v48, 0xbf0a6770, v20
	v_fma_f32 v32, 0x3ed4b147, v21, -v32
	v_add_f32_e32 v42, v42, v44
	v_mul_f32_e32 v18, 0xbf4178ce, v20
	v_add_f32_e32 v17, v17, v19
	v_fmamk_f32 v20, v21, 0x3f575c64, v48
	v_fma_f32 v44, 0x3f575c64, v21, -v48
	v_mul_f32_e32 v19, 0xbf4178ce, v16
	v_add_f32_e32 v49, v57, v53
	v_add_f32_e32 v32, v32, v47
	v_fmamk_f32 v47, v21, 0xbf27a4f4, v18
	v_add_f32_e32 v20, v20, v31
	v_add_f32_e32 v31, v44, v41
	v_fma_f32 v18, 0xbf27a4f4, v21, -v18
	v_fmamk_f32 v21, v17, 0xbf27a4f4, v19
	v_mul_f32_e32 v44, 0x3f7d64f0, v16
	v_fma_f32 v19, 0xbf27a4f4, v17, -v19
	v_add_f32_e32 v46, v46, v49
	v_add_f32_e32 v18, v18, v27
	;; [unrolled: 1-line block ×3, first 2 shown]
	v_mul_f32_e32 v27, 0xbf0a6770, v16
	v_fmamk_f32 v36, v17, 0xbe11bafb, v44
	v_add_f32_e32 v19, v19, v23
	v_mul_f32_e32 v23, 0xbe903f40, v16
	v_mul_f32_e32 v16, 0x3f68dda4, v16
	v_sub_f32_e32 v12, v12, v14
	v_add_f32_e32 v41, v47, v45
	v_add_f32_e32 v36, v36, v46
	v_fmamk_f32 v46, v17, 0xbf75a155, v23
	v_fma_f32 v14, 0xbf75a155, v17, -v23
	v_fmamk_f32 v23, v17, 0x3ed4b147, v16
	v_fma_f32 v44, 0xbe11bafb, v17, -v44
	;; [unrolled: 2-line block ×3, first 2 shown]
	v_fma_f32 v16, 0x3ed4b147, v17, -v16
	v_add_f32_e32 v13, v13, v15
	v_mul_f32_e32 v15, 0xbe903f40, v12
	v_mul_f32_e32 v17, 0x3f0a6770, v12
	v_add_f32_e32 v23, v23, v41
	v_mul_lo_u32 v41, v86, 22
	v_add_f32_e32 v14, v14, v31
	v_add_f32_e32 v16, v16, v18
	v_fmamk_f32 v18, v13, 0xbf75a155, v15
	v_fmamk_f32 v31, v13, 0x3f575c64, v17
	v_add_f32_e32 v27, v27, v32
	v_fma_f32 v15, 0xbf75a155, v13, -v15
	v_mul_f32_e32 v32, 0xbf4178ce, v12
	v_add_f32_e32 v18, v18, v21
	v_add_f32_e32 v21, v31, v36
	v_mul_f32_e32 v31, 0x3f68dda4, v12
	v_or_b32_e32 v26, v41, v26
	v_add_f32_e32 v37, v44, v37
	v_fma_f32 v17, 0x3f575c64, v13, -v17
	v_mul_f32_e32 v12, 0xbf7d64f0, v12
	v_add_f32_e32 v20, v46, v20
	v_fmamk_f32 v36, v13, 0x3ed4b147, v31
	v_lshlrev_b32_e32 v26, 2, v26
	v_add_f32_e32 v42, v45, v42
	v_add_f32_e32 v15, v15, v19
	v_fmamk_f32 v19, v13, 0xbf27a4f4, v32
	v_add_f32_e32 v17, v17, v37
	v_fmamk_f32 v37, v13, 0xbe11bafb, v12
	v_fma_f32 v31, 0x3ed4b147, v13, -v31
	v_fma_f32 v12, 0xbe11bafb, v13, -v12
	;; [unrolled: 1-line block ×3, first 2 shown]
	v_add_f32_e32 v13, v36, v20
	v_add3_u32 v20, 0, v26, v80
	v_add_f32_e32 v19, v19, v42
	v_add_f32_e32 v23, v37, v23
	;; [unrolled: 1-line block ×5, first 2 shown]
	ds_write2_b32 v20, v34, v18 offset1:2
	ds_write2_b32 v20, v21, v19 offset0:4 offset1:6
	ds_write2_b32 v20, v13, v23 offset0:8 offset1:10
	;; [unrolled: 1-line block ×4, first 2 shown]
	ds_write_b32 v20, v15 offset:80
.LBB0_20:
	s_or_b32 exec_lo, exec_lo, s1
	v_lshrrev_b16 v12, 1, v70
	v_lshrrev_b16 v13, 1, v77
	v_mov_b32_e32 v16, 6
	s_waitcnt lgkmcnt(0)
	s_barrier
	v_and_b32_e32 v12, 0x7f, v12
	buffer_gl0_inv
	v_mov_b32_e32 v62, 2
	v_mul_lo_u16 v12, 0xbb, v12
	v_lshrrev_b16 v23, 11, v12
	v_and_b32_e32 v12, 0x7f, v13
	v_mul_lo_u16 v13, v23, 22
	v_mul_lo_u16 v12, 0xbb, v12
	v_and_b32_e32 v23, 0xffff, v23
	v_sub_nc_u16 v34, v70, v13
	v_lshrrev_b16 v26, 11, v12
	v_mad_u32_u24 v23, 0x268, v23, 0
	v_mul_u32_u24_sdwa v12, v34, v16 dst_sel:DWORD dst_unused:UNUSED_PAD src0_sel:BYTE_0 src1_sel:DWORD
	v_mul_lo_u16 v13, v26, 22
	v_and_b32_e32 v37, 0xffff, v26
	v_lshlrev_b32_sdwa v34, v62, v34 dst_sel:DWORD dst_unused:UNUSED_PAD src0_sel:DWORD src1_sel:BYTE_0
	v_lshlrev_b32_e32 v20, 3, v12
	v_sub_nc_u16 v36, v77, v13
	v_mad_u32_u24 v63, 0x268, v37, 0
	v_add3_u32 v23, v23, v34, v80
	global_load_dwordx4 v[12:15], v20, s[8:9] offset:160
	v_mul_u32_u24_sdwa v21, v36, v16 dst_sel:DWORD dst_unused:UNUSED_PAD src0_sel:BYTE_0 src1_sel:DWORD
	global_load_dwordx4 v[16:19], v20, s[8:9] offset:176
	v_lshlrev_b32_sdwa v62, v62, v36 dst_sel:DWORD dst_unused:UNUSED_PAD src0_sel:DWORD src1_sel:BYTE_0
	v_lshlrev_b32_e32 v21, 3, v21
	s_clause 0x3
	global_load_dwordx4 v[44:47], v20, s[8:9] offset:192
	global_load_dwordx4 v[48:51], v21, s[8:9] offset:160
	;; [unrolled: 1-line block ×4, first 2 shown]
	ds_read_b32 v41, v78
	ds_read2_b32 v[20:21], v22 offset0:27 offset1:104
	ds_read_b32 v42, v10
	ds_read_b32 v60, v8
	;; [unrolled: 1-line block ×3, first 2 shown]
	ds_read2_b32 v[26:27], v28 offset0:53 offset1:130
	ds_read2_b32 v[31:32], v29 offset0:79 offset1:156
	;; [unrolled: 1-line block ×3, first 2 shown]
	ds_read_b32 v64, v11
	ds_read_b32 v65, v79 offset:4004
	v_add3_u32 v34, v63, v62, v80
	s_waitcnt vmcnt(0) lgkmcnt(0)
	s_barrier
	buffer_gl0_inv
	v_mul_f32_e32 v62, v42, v13
	v_mul_f32_e32 v13, v43, v13
	;; [unrolled: 1-line block ×24, first 2 shown]
	v_fma_f32 v43, v43, v12, -v62
	v_fmac_f32_e32 v13, v42, v12
	v_fma_f32 v12, v40, v14, -v63
	v_fma_f32 v1, v1, v44, -v68
	;; [unrolled: 1-line block ×3, first 2 shown]
	v_fmac_f32_e32 v15, v60, v14
	v_fmac_f32_e32 v45, v27, v44
	;; [unrolled: 1-line block ×3, first 2 shown]
	v_fma_f32 v14, v39, v16, -v66
	v_fmac_f32_e32 v17, v61, v16
	v_fma_f32 v3, v3, v18, -v67
	v_fmac_f32_e32 v19, v21, v18
	v_fma_f32 v6, v6, v48, -v81
	v_fma_f32 v7, v7, v50, -v82
	;; [unrolled: 1-line block ×4, first 2 shown]
	v_fmac_f32_e32 v49, v36, v48
	v_fmac_f32_e32 v51, v37, v50
	v_fma_f32 v2, v2, v52, -v83
	v_fmac_f32_e32 v53, v20, v52
	v_fma_f32 v0, v0, v54, -v84
	v_fmac_f32_e32 v55, v26, v54
	v_fmac_f32_e32 v57, v31, v56
	;; [unrolled: 1-line block ×3, first 2 shown]
	v_add_f32_e32 v18, v43, v5
	v_add_f32_e32 v21, v12, v1
	;; [unrolled: 1-line block ×4, first 2 shown]
	v_sub_f32_e32 v5, v43, v5
	v_sub_f32_e32 v1, v12, v1
	;; [unrolled: 1-line block ×3, first 2 shown]
	v_add_f32_e32 v15, v14, v3
	v_add_f32_e32 v27, v17, v19
	v_sub_f32_e32 v3, v3, v14
	v_sub_f32_e32 v14, v19, v17
	v_add_f32_e32 v17, v6, v16
	v_add_f32_e32 v31, v7, v4
	v_sub_f32_e32 v13, v13, v47
	v_add_f32_e32 v19, v49, v59
	v_sub_f32_e32 v6, v6, v16
	v_sub_f32_e32 v16, v49, v59
	v_add_f32_e32 v32, v51, v57
	v_sub_f32_e32 v4, v7, v4
	v_sub_f32_e32 v7, v51, v57
	v_add_f32_e32 v36, v2, v0
	v_add_f32_e32 v37, v53, v55
	v_sub_f32_e32 v0, v0, v2
	v_sub_f32_e32 v2, v55, v53
	v_add_f32_e32 v38, v21, v18
	v_add_f32_e32 v39, v26, v20
	v_sub_f32_e32 v40, v21, v18
	v_sub_f32_e32 v18, v18, v15
	v_sub_f32_e32 v21, v15, v21
	v_add_f32_e32 v43, v3, v1
	v_sub_f32_e32 v45, v3, v1
	v_sub_f32_e32 v1, v1, v5
	v_add_f32_e32 v47, v31, v17
	v_sub_f32_e32 v42, v26, v20
	v_sub_f32_e32 v20, v20, v27
	v_sub_f32_e32 v26, v27, v26
	v_add_f32_e32 v44, v14, v12
	v_sub_f32_e32 v46, v14, v12
	v_sub_f32_e32 v12, v12, v13
	v_add_f32_e32 v48, v32, v19
	v_sub_f32_e32 v49, v31, v17
	v_sub_f32_e32 v50, v32, v19
	v_sub_f32_e32 v17, v17, v36
	v_sub_f32_e32 v31, v36, v31
	v_sub_f32_e32 v32, v37, v32
	v_add_f32_e32 v51, v0, v4
	v_add_f32_e32 v52, v2, v7
	v_sub_f32_e32 v53, v0, v4
	v_sub_f32_e32 v54, v2, v7
	v_sub_f32_e32 v4, v4, v6
	v_sub_f32_e32 v7, v7, v16
	v_add_f32_e32 v15, v15, v38
	v_add_f32_e32 v27, v27, v39
	v_sub_f32_e32 v3, v5, v3
	v_add_f32_e32 v5, v43, v5
	v_mul_f32_e32 v18, 0x3f4a47b2, v18
	v_mul_f32_e32 v38, 0x3d64c772, v21
	;; [unrolled: 1-line block ×4, first 2 shown]
	v_add_f32_e32 v36, v36, v47
	v_sub_f32_e32 v14, v13, v14
	v_sub_f32_e32 v19, v19, v37
	;; [unrolled: 1-line block ×4, first 2 shown]
	v_add_f32_e32 v13, v44, v13
	v_mul_f32_e32 v20, 0x3f4a47b2, v20
	v_mul_f32_e32 v39, 0x3d64c772, v26
	;; [unrolled: 1-line block ×4, first 2 shown]
	v_add_f32_e32 v37, v37, v48
	v_add_f32_e32 v6, v51, v6
	;; [unrolled: 1-line block ×3, first 2 shown]
	v_mul_f32_e32 v17, 0x3f4a47b2, v17
	v_mul_f32_e32 v47, 0x3d64c772, v31
	;; [unrolled: 1-line block ×7, first 2 shown]
	v_add_f32_e32 v33, v33, v15
	v_add_f32_e32 v41, v41, v27
	v_fmamk_f32 v21, v21, 0x3d64c772, v18
	v_fma_f32 v38, 0x3f3bfb3b, v40, -v38
	v_fma_f32 v18, 0xbf3bfb3b, v40, -v18
	v_fmamk_f32 v40, v3, 0x3eae86e6, v43
	v_fma_f32 v1, 0x3f5ff5aa, v1, -v43
	v_fma_f32 v3, 0xbeae86e6, v3, -v45
	v_add_f32_e32 v35, v35, v36
	v_mul_f32_e32 v19, 0x3f4a47b2, v19
	v_fmamk_f32 v26, v26, 0x3d64c772, v20
	v_fma_f32 v39, 0x3f3bfb3b, v42, -v39
	v_fma_f32 v20, 0xbf3bfb3b, v42, -v20
	v_fmamk_f32 v42, v14, 0x3eae86e6, v44
	v_fma_f32 v12, 0x3f5ff5aa, v12, -v44
	v_fma_f32 v14, 0xbeae86e6, v14, -v46
	v_add_f32_e32 v43, v64, v37
	v_fmamk_f32 v31, v31, 0x3d64c772, v17
	v_fma_f32 v44, 0x3f3bfb3b, v49, -v47
	v_fma_f32 v45, 0x3f3bfb3b, v50, -v48
	;; [unrolled: 1-line block ×3, first 2 shown]
	v_fmamk_f32 v46, v0, 0x3eae86e6, v51
	v_fmamk_f32 v47, v2, 0x3eae86e6, v52
	v_fma_f32 v48, 0x3f5ff5aa, v4, -v51
	v_fma_f32 v49, 0xbeae86e6, v0, -v53
	;; [unrolled: 1-line block ×3, first 2 shown]
	v_fmamk_f32 v2, v15, 0xbf955555, v33
	v_fma_f32 v4, 0x3f5ff5aa, v7, -v52
	v_fmamk_f32 v7, v27, 0xbf955555, v41
	v_fmac_f32_e32 v40, 0x3ee1c552, v5
	v_fmac_f32_e32 v1, 0x3ee1c552, v5
	;; [unrolled: 1-line block ×3, first 2 shown]
	v_fmamk_f32 v5, v36, 0xbf955555, v35
	v_fmamk_f32 v32, v32, 0x3d64c772, v19
	v_fma_f32 v19, 0xbf3bfb3b, v50, -v19
	v_fmac_f32_e32 v42, 0x3ee1c552, v13
	v_fmac_f32_e32 v12, 0x3ee1c552, v13
	;; [unrolled: 1-line block ×3, first 2 shown]
	v_fmamk_f32 v13, v37, 0xbf955555, v43
	v_fmac_f32_e32 v46, 0x3ee1c552, v6
	v_fmac_f32_e32 v48, 0x3ee1c552, v6
	;; [unrolled: 1-line block ×3, first 2 shown]
	v_add_f32_e32 v6, v21, v2
	v_fmac_f32_e32 v47, 0x3ee1c552, v16
	v_fmac_f32_e32 v4, 0x3ee1c552, v16
	;; [unrolled: 1-line block ×3, first 2 shown]
	v_add_f32_e32 v16, v38, v2
	v_add_f32_e32 v2, v18, v2
	;; [unrolled: 1-line block ×13, first 2 shown]
	v_sub_f32_e32 v36, v16, v12
	v_add_f32_e32 v37, v1, v21
	v_add_f32_e32 v12, v12, v16
	v_sub_f32_e32 v21, v21, v1
	v_sub_f32_e32 v1, v2, v14
	;; [unrolled: 1-line block ×4, first 2 shown]
	v_add_f32_e32 v38, v3, v7
	v_add_f32_e32 v3, v47, v18
	;; [unrolled: 1-line block ×3, first 2 shown]
	v_sub_f32_e32 v7, v26, v4
	v_add_f32_e32 v4, v4, v26
	v_sub_f32_e32 v0, v5, v0
	v_sub_f32_e32 v5, v18, v47
	;; [unrolled: 1-line block ×3, first 2 shown]
	v_add_f32_e32 v39, v40, v15
	ds_write2_b32 v23, v33, v13 offset1:22
	ds_write2_b32 v23, v17, v36 offset0:44 offset1:66
	ds_write2_b32 v23, v12, v1 offset0:88 offset1:110
	ds_write_b32 v23, v2 offset:528
	ds_write2_b32 v34, v35, v3 offset1:22
	ds_write2_b32 v34, v6, v7 offset0:44 offset1:66
	ds_write2_b32 v34, v4, v0 offset0:88 offset1:110
	ds_write_b32 v34, v5 offset:528
	s_waitcnt lgkmcnt(0)
	s_barrier
	buffer_gl0_inv
	ds_read_b32 v12, v78
	ds_read2_b32 v[0:1], v22 offset0:27 offset1:104
	ds_read2_b32 v[4:5], v28 offset0:53 offset1:130
	;; [unrolled: 1-line block ×3, first 2 shown]
	ds_read_b32 v14, v8
	ds_read_b32 v17, v9
	;; [unrolled: 1-line block ×3, first 2 shown]
	ds_read2_b32 v[6:7], v30 offset0:39 offset1:193
	ds_read_b32 v15, v10
	ds_read_b32 v16, v79 offset:4004
	v_sub_f32_e32 v40, v20, v46
	v_sub_f32_e32 v18, v19, v49
	v_add_f32_e32 v22, v48, v27
	v_sub_f32_e32 v26, v27, v48
	v_add_f32_e32 v19, v49, v19
	v_add_f32_e32 v20, v46, v20
	s_waitcnt lgkmcnt(0)
	s_barrier
	buffer_gl0_inv
	ds_write2_b32 v23, v41, v31 offset1:22
	ds_write2_b32 v23, v32, v37 offset0:44 offset1:66
	ds_write2_b32 v23, v21, v38 offset0:88 offset1:110
	ds_write_b32 v23, v39 offset:528
	ds_write2_b32 v34, v43, v40 offset1:22
	ds_write2_b32 v34, v18, v22 offset0:44 offset1:66
	ds_write2_b32 v34, v26, v19 offset0:88 offset1:110
	ds_write_b32 v34, v20 offset:528
	s_waitcnt lgkmcnt(0)
	s_barrier
	buffer_gl0_inv
	s_and_saveexec_b32 s0, vcc_lo
	s_cbranch_execz .LBB0_22
; %bb.21:
	v_mul_u32_u24_e32 v18, 6, v70
	v_mul_i32_i24_e32 v22, 6, v77
	v_mov_b32_e32 v23, 0
	v_add_nc_u32_e32 v52, 0x300, v79
	v_add_nc_u32_e32 v54, 0xa00, v79
	v_lshlrev_b32_e32 v42, 3, v18
	v_add_nc_u32_e32 v56, 0x800, v79
	v_lshlrev_b64 v[22:23], 3, v[22:23]
	v_add_nc_u32_e32 v58, 0xc00, v79
	v_mul_hi_u32 v60, 0x3531dec1, v69
	s_clause 0x1
	global_load_dwordx4 v[18:21], v42, s[8:9] offset:1248
	global_load_dwordx4 v[26:29], v42, s[8:9] offset:1232
	v_mad_u64_u32 v[46:47], null, s2, v76, 0
	v_add_co_u32 v22, vcc_lo, s8, v22
	v_add_co_ci_u32_e32 v23, vcc_lo, s9, v23, vcc_lo
	v_add_co_u32 v87, vcc_lo, s12, v24
	s_clause 0x3
	global_load_dwordx4 v[30:33], v[22:23], off offset:1216
	global_load_dwordx4 v[34:37], v[22:23], off offset:1248
	;; [unrolled: 1-line block ×3, first 2 shown]
	global_load_dwordx4 v[42:45], v42, s[8:9] offset:1216
	ds_read_b32 v81, v10
	ds_read_b32 v82, v11
	;; [unrolled: 1-line block ×4, first 2 shown]
	ds_read_b32 v85, v79 offset:4004
	ds_read_b32 v86, v78
	ds_read2_b32 v[52:53], v52 offset0:39 offset1:193
	ds_read2_b32 v[54:55], v54 offset0:53 offset1:130
	;; [unrolled: 1-line block ×4, first 2 shown]
	v_mad_u64_u32 v[8:9], null, s2, v70, 0
	v_mad_u64_u32 v[10:11], null, s2, v71, 0
	v_add_co_ci_u32_e32 v88, vcc_lo, s13, v25, vcc_lo
	v_mad_u64_u32 v[22:23], null, s2, v72, 0
	v_mad_u64_u32 v[24:25], null, s2, v73, 0
	;; [unrolled: 1-line block ×4, first 2 shown]
	v_lshrrev_b32_e32 v66, 5, v60
	v_mad_u64_u32 v[60:61], null, s3, v70, v[9:10]
	v_mad_u64_u32 v[61:62], null, s3, v71, v[11:12]
	;; [unrolled: 1-line block ×3, first 2 shown]
	v_mov_b32_e32 v9, v60
	v_mov_b32_e32 v11, v61
	;; [unrolled: 1-line block ×3, first 2 shown]
	v_lshlrev_b64 v[8:9], 3, v[8:9]
	v_lshlrev_b64 v[10:11], 3, v[10:11]
	;; [unrolled: 1-line block ×3, first 2 shown]
	v_add_co_u32 v8, vcc_lo, v87, v8
	v_add_co_ci_u32_e32 v9, vcc_lo, v88, v9, vcc_lo
	v_add_co_u32 v10, vcc_lo, v87, v10
	v_add_co_ci_u32_e32 v11, vcc_lo, v88, v11, vcc_lo
	v_add_co_u32 v22, vcc_lo, v87, v22
	v_add_co_ci_u32_e32 v23, vcc_lo, v88, v23, vcc_lo
	s_waitcnt vmcnt(4)
	v_mad_u64_u32 v[63:64], null, s3, v73, v[25:26]
	v_mad_u64_u32 v[64:65], null, s3, v76, v[47:48]
	v_mad_u32_u24 v76, 0x39c, v66, v69
	v_mad_u64_u32 v[65:66], null, s3, v74, v[49:50]
	s_waitcnt lgkmcnt(3)
	v_mad_u64_u32 v[66:67], null, s3, v75, v[51:52]
	v_mad_u64_u32 v[67:68], null, s2, v76, 0
	v_add_nc_u32_e32 v77, 0x9a, v76
	v_add_nc_u32_e32 v78, 0x134, v76
	;; [unrolled: 1-line block ×4, first 2 shown]
	v_mov_b32_e32 v51, v66
	v_mov_b32_e32 v25, v63
	;; [unrolled: 1-line block ×3, first 2 shown]
	v_mad_u64_u32 v[60:61], null, s2, v77, 0
	v_mad_u64_u32 v[62:63], null, s2, v78, 0
	v_mov_b32_e32 v47, v64
	v_mov_b32_e32 v49, v65
	v_mad_u64_u32 v[64:65], null, s2, v79, 0
	v_mad_u64_u32 v[69:70], null, s2, v80, 0
	v_add_nc_u32_e32 v89, 0x302, v76
	v_add_nc_u32_e32 v90, 0x39c, v76
	v_mad_u64_u32 v[75:76], null, s3, v76, v[66:67]
	v_mad_u64_u32 v[76:77], null, s3, v77, v[61:62]
	;; [unrolled: 1-line block ×3, first 2 shown]
	v_mov_b32_e32 v66, v70
	v_lshlrev_b64 v[24:25], 3, v[24:25]
	v_mov_b32_e32 v68, v75
	s_waitcnt lgkmcnt(1)
	v_mul_f32_e32 v75, v57, v29
	v_mov_b32_e32 v61, v76
	v_mad_u64_u32 v[78:79], null, s3, v79, v[65:66]
	v_mad_u64_u32 v[79:80], null, s3, v80, v[66:67]
	v_mov_b32_e32 v63, v77
	v_lshlrev_b64 v[66:67], 3, v[67:68]
	s_waitcnt lgkmcnt(0)
	v_mul_f32_e32 v68, v59, v21
	v_mul_f32_e32 v76, v83, v27
	;; [unrolled: 1-line block ×7, first 2 shown]
	v_fma_f32 v3, v3, v20, -v68
	v_fma_f32 v1, v1, v28, -v75
	;; [unrolled: 1-line block ×4, first 2 shown]
	v_fmac_f32_e32 v21, v20, v59
	v_fmac_f32_e32 v27, v26, v83
	;; [unrolled: 1-line block ×4, first 2 shown]
	s_waitcnt vmcnt(3)
	v_mul_f32_e32 v18, v52, v31
	s_waitcnt vmcnt(2)
	v_mul_f32_e32 v20, v85, v37
	;; [unrolled: 2-line block ×3, first 2 shown]
	v_mul_f32_e32 v28, v56, v39
	v_mul_f32_e32 v55, v53, v33
	;; [unrolled: 1-line block ×9, first 2 shown]
	s_waitcnt vmcnt(0)
	v_mul_f32_e32 v59, v81, v43
	v_mul_f32_e32 v68, v84, v45
	;; [unrolled: 1-line block ×4, first 2 shown]
	v_fma_f32 v6, v6, v30, -v18
	v_fma_f32 v16, v16, v36, -v20
	;; [unrolled: 1-line block ×6, first 2 shown]
	v_fmac_f32_e32 v37, v36, v85
	v_fmac_f32_e32 v31, v30, v52
	;; [unrolled: 1-line block ×6, first 2 shown]
	v_fma_f32 v15, v15, v42, -v59
	v_fma_f32 v14, v14, v44, -v68
	v_fmac_f32_e32 v43, v42, v81
	v_fmac_f32_e32 v45, v44, v84
	v_sub_f32_e32 v75, v1, v17
	v_add_f32_e32 v76, v29, v27
	v_add_f32_e32 v1, v1, v17
	v_sub_f32_e32 v17, v29, v27
	v_sub_f32_e32 v18, v6, v16
	;; [unrolled: 1-line block ×4, first 2 shown]
	v_add_f32_e32 v27, v31, v37
	v_add_f32_e32 v28, v41, v39
	;; [unrolled: 1-line block ×6, first 2 shown]
	v_sub_f32_e32 v4, v31, v37
	v_sub_f32_e32 v7, v41, v39
	;; [unrolled: 1-line block ×5, first 2 shown]
	v_add_f32_e32 v32, v43, v21
	v_add_f32_e32 v33, v45, v19
	;; [unrolled: 1-line block ×4, first 2 shown]
	v_sub_f32_e32 v14, v43, v21
	v_sub_f32_e32 v15, v45, v19
	;; [unrolled: 1-line block ×4, first 2 shown]
	v_add_f32_e32 v20, v20, v26
	v_sub_f32_e32 v34, v27, v28
	v_sub_f32_e32 v35, v28, v29
	v_add_f32_e32 v36, v27, v29
	v_sub_f32_e32 v37, v6, v0
	v_sub_f32_e32 v38, v0, v2
	;; [unrolled: 3-line block ×4, first 2 shown]
	v_sub_f32_e32 v6, v16, v4
	v_add_f32_e32 v42, v75, v31
	v_sub_f32_e32 v44, v76, v33
	v_add_f32_e32 v45, v32, v33
	v_add_f32_e32 v54, v3, v5
	v_sub_f32_e32 v27, v29, v27
	v_sub_f32_e32 v16, v30, v75
	;; [unrolled: 1-line block ×8, first 2 shown]
	v_add_f32_e32 v17, v17, v15
	v_sub_f32_e32 v31, v31, v30
	v_sub_f32_e32 v32, v33, v32
	;; [unrolled: 1-line block ×4, first 2 shown]
	v_mul_f32_e32 v3, 0xbf08b237, v21
	v_add_f32_e32 v18, v18, v20
	v_mul_f32_e32 v20, 0x3f4a47b2, v34
	v_mul_f32_e32 v21, 0x3d64c772, v35
	v_add_f32_e32 v28, v28, v36
	v_mul_f32_e32 v33, 0x3f4a47b2, v37
	;; [unrolled: 3-line block ×3, first 2 shown]
	v_add_f32_e32 v4, v4, v7
	v_mul_f32_e32 v7, 0x3f5ff5aa, v26
	v_mul_f32_e32 v39, 0x3f5ff5aa, v6
	v_add_f32_e32 v30, v30, v42
	v_mul_f32_e32 v42, 0x3d64c772, v44
	v_add_f32_e32 v44, v76, v45
	v_add_f32_e32 v54, v1, v54
	v_lshlrev_b64 v[46:47], 3, v[46:47]
	v_mul_f32_e32 v29, 0xbf08b237, v29
	v_mul_f32_e32 v41, 0x3f4a47b2, v43
	;; [unrolled: 1-line block ×4, first 2 shown]
	v_add_f32_e32 v14, v14, v17
	v_mul_f32_e32 v17, 0x3f5ff5aa, v31
	v_mul_f32_e32 v57, 0x3f5ff5aa, v15
	v_fmamk_f32 v58, v19, 0x3eae86e6, v3
	v_fmamk_f32 v34, v34, 0x3f4a47b2, v21
	v_add_f32_e32 v1, v82, v28
	v_add_f32_e32 v0, v13, v36
	v_fmamk_f32 v59, v40, 0x3eae86e6, v38
	v_fma_f32 v13, 0xbeae86e6, v19, -v7
	v_fma_f32 v7, 0xbf3bfb3b, v27, -v20
	;; [unrolled: 1-line block ×8, first 2 shown]
	v_add_f32_e32 v3, v86, v44
	v_add_f32_e32 v2, v12, v54
	v_mul_f32_e32 v45, 0x3f4a47b2, v52
	v_lshlrev_b64 v[48:49], 3, v[48:49]
	v_add_co_u32 v24, vcc_lo, v87, v24
	v_add_co_ci_u32_e32 v25, vcc_lo, v88, v25, vcc_lo
	v_fmamk_f32 v37, v37, 0x3f4a47b2, v35
	v_fmamk_f32 v33, v16, 0x3eae86e6, v29
	;; [unrolled: 1-line block ×5, first 2 shown]
	v_fma_f32 v40, 0xbeae86e6, v16, -v17
	v_fma_f32 v12, 0xbf3bfb3b, v32, -v41
	v_fma_f32 v41, 0xbeae86e6, v55, -v57
	v_fma_f32 v17, 0x3f3bfb3b, v32, -v42
	v_fma_f32 v29, 0x3f5ff5aa, v31, -v29
	v_fma_f32 v32, 0x3f5ff5aa, v15, -v56
	v_fmac_f32_e32 v58, 0x3ee1c552, v18
	v_fmamk_f32 v15, v28, 0xbf955555, v1
	v_fmamk_f32 v28, v36, 0xbf955555, v0
	v_fmac_f32_e32 v59, 0x3ee1c552, v4
	v_fmac_f32_e32 v13, 0x3ee1c552, v18
	;; [unrolled: 1-line block ×5, first 2 shown]
	v_fmamk_f32 v4, v44, 0xbf955555, v3
	v_fmamk_f32 v18, v54, 0xbf955555, v2
	v_lshlrev_b64 v[50:51], 3, v[50:51]
	v_add_co_u32 v46, vcc_lo, v87, v46
	v_fma_f32 v16, 0xbf3bfb3b, v5, -v45
	v_fma_f32 v5, 0x3f3bfb3b, v5, -v53
	v_add_co_ci_u32_e32 v47, vcc_lo, v88, v47, vcc_lo
	v_add_co_u32 v48, vcc_lo, v87, v48
	v_fmac_f32_e32 v33, 0x3ee1c552, v30
	v_fmac_f32_e32 v39, 0x3ee1c552, v14
	;; [unrolled: 1-line block ×6, first 2 shown]
	global_store_dwordx2 v[8:9], v[2:3], off
	v_add_f32_e32 v14, v34, v15
	v_add_f32_e32 v30, v37, v28
	;; [unrolled: 1-line block ×8, first 2 shown]
	v_add_co_ci_u32_e32 v49, vcc_lo, v88, v49, vcc_lo
	v_add_f32_e32 v35, v12, v4
	v_add_f32_e32 v36, v16, v18
	;; [unrolled: 1-line block ×3, first 2 shown]
	v_mad_u64_u32 v[71:72], null, s2, v89, 0
	v_mad_u64_u32 v[73:74], null, s2, v90, 0
	v_add_co_u32 v50, vcc_lo, v87, v50
	v_lshlrev_b64 v[60:61], 3, v[60:61]
	v_add_f32_e32 v18, v5, v18
	v_add_co_ci_u32_e32 v51, vcc_lo, v88, v51, vcc_lo
	v_add_co_u32 v66, vcc_lo, v87, v66
	v_add_f32_e32 v3, v58, v14
	v_sub_f32_e32 v2, v30, v59
	v_add_f32_e32 v5, v13, v31
	v_sub_f32_e32 v7, v8, v26
	v_add_f32_e32 v6, v27, v15
	v_add_f32_e32 v9, v26, v8
	v_sub_f32_e32 v8, v15, v27
	v_sub_f32_e32 v13, v31, v13
	;; [unrolled: 1-line block ×3, first 2 shown]
	v_add_f32_e32 v14, v59, v30
	v_sub_f32_e32 v31, v28, v33
	v_add_f32_e32 v30, v39, v34
	v_add_f32_e32 v17, v33, v28
	v_sub_f32_e32 v21, v37, v29
	v_add_f32_e32 v27, v29, v37
	v_sub_f32_e32 v29, v35, v40
	v_add_f32_e32 v28, v41, v36
	v_add_co_ci_u32_e32 v67, vcc_lo, v88, v67, vcc_lo
	v_sub_f32_e32 v26, v18, v32
	v_add_co_u32 v60, vcc_lo, v87, v60
	v_sub_f32_e32 v4, v19, v20
	v_add_f32_e32 v12, v20, v19
	v_add_f32_e32 v20, v32, v18
	;; [unrolled: 1-line block ×3, first 2 shown]
	v_sub_f32_e32 v18, v36, v41
	v_add_co_ci_u32_e32 v61, vcc_lo, v88, v61, vcc_lo
	v_sub_f32_e32 v16, v34, v39
	global_store_dwordx2 v[10:11], v[30:31], off
	global_store_dwordx2 v[22:23], v[28:29], off
	;; [unrolled: 1-line block ×8, first 2 shown]
	v_mad_u64_u32 v[0:1], null, s3, v89, v[72:73]
	v_mov_b32_e32 v1, v74
	v_mov_b32_e32 v65, v78
	v_lshlrev_b64 v[62:63], 3, v[62:63]
	v_mov_b32_e32 v70, v79
	v_mad_u64_u32 v[16:17], null, s3, v90, v[1:2]
	v_lshlrev_b64 v[14:15], 3, v[64:65]
	v_add_co_u32 v10, vcc_lo, v87, v62
	v_lshlrev_b64 v[17:18], 3, v[69:70]
	v_mov_b32_e32 v72, v0
	v_add_co_ci_u32_e32 v11, vcc_lo, v88, v63, vcc_lo
	v_add_co_u32 v0, vcc_lo, v87, v14
	v_mov_b32_e32 v74, v16
	v_add_co_ci_u32_e32 v1, vcc_lo, v88, v15, vcc_lo
	v_lshlrev_b64 v[14:15], 3, v[71:72]
	v_add_co_u32 v16, vcc_lo, v87, v17
	v_add_co_ci_u32_e32 v17, vcc_lo, v88, v18, vcc_lo
	v_lshlrev_b64 v[18:19], 3, v[73:74]
	v_add_co_u32 v14, vcc_lo, v87, v14
	v_add_co_ci_u32_e32 v15, vcc_lo, v88, v15, vcc_lo
	v_add_co_u32 v18, vcc_lo, v87, v18
	v_add_co_ci_u32_e32 v19, vcc_lo, v88, v19, vcc_lo
	global_store_dwordx2 v[10:11], v[12:13], off
	global_store_dwordx2 v[0:1], v[8:9], off
	;; [unrolled: 1-line block ×5, first 2 shown]
.LBB0_22:
	s_endpgm
	.section	.rodata,"a",@progbits
	.p2align	6, 0x0
	.amdhsa_kernel fft_rtc_fwd_len1078_factors_2_11_7_7_wgs_231_tpt_77_halfLds_sp_ip_CI_sbrr_dirReg
		.amdhsa_group_segment_fixed_size 0
		.amdhsa_private_segment_fixed_size 0
		.amdhsa_kernarg_size 88
		.amdhsa_user_sgpr_count 6
		.amdhsa_user_sgpr_private_segment_buffer 1
		.amdhsa_user_sgpr_dispatch_ptr 0
		.amdhsa_user_sgpr_queue_ptr 0
		.amdhsa_user_sgpr_kernarg_segment_ptr 1
		.amdhsa_user_sgpr_dispatch_id 0
		.amdhsa_user_sgpr_flat_scratch_init 0
		.amdhsa_user_sgpr_private_segment_size 0
		.amdhsa_wavefront_size32 1
		.amdhsa_uses_dynamic_stack 0
		.amdhsa_system_sgpr_private_segment_wavefront_offset 0
		.amdhsa_system_sgpr_workgroup_id_x 1
		.amdhsa_system_sgpr_workgroup_id_y 0
		.amdhsa_system_sgpr_workgroup_id_z 0
		.amdhsa_system_sgpr_workgroup_info 0
		.amdhsa_system_vgpr_workitem_id 0
		.amdhsa_next_free_vgpr 126
		.amdhsa_next_free_sgpr 23
		.amdhsa_reserve_vcc 1
		.amdhsa_reserve_flat_scratch 0
		.amdhsa_float_round_mode_32 0
		.amdhsa_float_round_mode_16_64 0
		.amdhsa_float_denorm_mode_32 3
		.amdhsa_float_denorm_mode_16_64 3
		.amdhsa_dx10_clamp 1
		.amdhsa_ieee_mode 1
		.amdhsa_fp16_overflow 0
		.amdhsa_workgroup_processor_mode 1
		.amdhsa_memory_ordered 1
		.amdhsa_forward_progress 0
		.amdhsa_shared_vgpr_count 0
		.amdhsa_exception_fp_ieee_invalid_op 0
		.amdhsa_exception_fp_denorm_src 0
		.amdhsa_exception_fp_ieee_div_zero 0
		.amdhsa_exception_fp_ieee_overflow 0
		.amdhsa_exception_fp_ieee_underflow 0
		.amdhsa_exception_fp_ieee_inexact 0
		.amdhsa_exception_int_div_zero 0
	.end_amdhsa_kernel
	.text
.Lfunc_end0:
	.size	fft_rtc_fwd_len1078_factors_2_11_7_7_wgs_231_tpt_77_halfLds_sp_ip_CI_sbrr_dirReg, .Lfunc_end0-fft_rtc_fwd_len1078_factors_2_11_7_7_wgs_231_tpt_77_halfLds_sp_ip_CI_sbrr_dirReg
                                        ; -- End function
	.section	.AMDGPU.csdata,"",@progbits
; Kernel info:
; codeLenInByte = 11912
; NumSgprs: 25
; NumVgprs: 126
; ScratchSize: 0
; MemoryBound: 0
; FloatMode: 240
; IeeeMode: 1
; LDSByteSize: 0 bytes/workgroup (compile time only)
; SGPRBlocks: 3
; VGPRBlocks: 15
; NumSGPRsForWavesPerEU: 25
; NumVGPRsForWavesPerEU: 126
; Occupancy: 8
; WaveLimiterHint : 1
; COMPUTE_PGM_RSRC2:SCRATCH_EN: 0
; COMPUTE_PGM_RSRC2:USER_SGPR: 6
; COMPUTE_PGM_RSRC2:TRAP_HANDLER: 0
; COMPUTE_PGM_RSRC2:TGID_X_EN: 1
; COMPUTE_PGM_RSRC2:TGID_Y_EN: 0
; COMPUTE_PGM_RSRC2:TGID_Z_EN: 0
; COMPUTE_PGM_RSRC2:TIDIG_COMP_CNT: 0
	.text
	.p2alignl 6, 3214868480
	.fill 48, 4, 3214868480
	.type	__hip_cuid_192212a2ccd22e38,@object ; @__hip_cuid_192212a2ccd22e38
	.section	.bss,"aw",@nobits
	.globl	__hip_cuid_192212a2ccd22e38
__hip_cuid_192212a2ccd22e38:
	.byte	0                               ; 0x0
	.size	__hip_cuid_192212a2ccd22e38, 1

	.ident	"AMD clang version 19.0.0git (https://github.com/RadeonOpenCompute/llvm-project roc-6.4.0 25133 c7fe45cf4b819c5991fe208aaa96edf142730f1d)"
	.section	".note.GNU-stack","",@progbits
	.addrsig
	.addrsig_sym __hip_cuid_192212a2ccd22e38
	.amdgpu_metadata
---
amdhsa.kernels:
  - .args:
      - .actual_access:  read_only
        .address_space:  global
        .offset:         0
        .size:           8
        .value_kind:     global_buffer
      - .offset:         8
        .size:           8
        .value_kind:     by_value
      - .actual_access:  read_only
        .address_space:  global
        .offset:         16
        .size:           8
        .value_kind:     global_buffer
      - .actual_access:  read_only
        .address_space:  global
        .offset:         24
        .size:           8
        .value_kind:     global_buffer
      - .offset:         32
        .size:           8
        .value_kind:     by_value
      - .actual_access:  read_only
        .address_space:  global
        .offset:         40
        .size:           8
        .value_kind:     global_buffer
      - .actual_access:  read_only
        .address_space:  global
        .offset:         48
        .size:           8
        .value_kind:     global_buffer
      - .offset:         56
        .size:           4
        .value_kind:     by_value
      - .actual_access:  read_only
        .address_space:  global
        .offset:         64
        .size:           8
        .value_kind:     global_buffer
      - .actual_access:  read_only
        .address_space:  global
        .offset:         72
        .size:           8
        .value_kind:     global_buffer
      - .address_space:  global
        .offset:         80
        .size:           8
        .value_kind:     global_buffer
    .group_segment_fixed_size: 0
    .kernarg_segment_align: 8
    .kernarg_segment_size: 88
    .language:       OpenCL C
    .language_version:
      - 2
      - 0
    .max_flat_workgroup_size: 231
    .name:           fft_rtc_fwd_len1078_factors_2_11_7_7_wgs_231_tpt_77_halfLds_sp_ip_CI_sbrr_dirReg
    .private_segment_fixed_size: 0
    .sgpr_count:     25
    .sgpr_spill_count: 0
    .symbol:         fft_rtc_fwd_len1078_factors_2_11_7_7_wgs_231_tpt_77_halfLds_sp_ip_CI_sbrr_dirReg.kd
    .uniform_work_group_size: 1
    .uses_dynamic_stack: false
    .vgpr_count:     126
    .vgpr_spill_count: 0
    .wavefront_size: 32
    .workgroup_processor_mode: 1
amdhsa.target:   amdgcn-amd-amdhsa--gfx1030
amdhsa.version:
  - 1
  - 2
...

	.end_amdgpu_metadata
